;; amdgpu-corpus repo=ROCm/rocFFT kind=compiled arch=gfx906 opt=O3
	.text
	.amdgcn_target "amdgcn-amd-amdhsa--gfx906"
	.amdhsa_code_object_version 6
	.protected	bluestein_single_fwd_len1280_dim1_sp_op_CI_CI ; -- Begin function bluestein_single_fwd_len1280_dim1_sp_op_CI_CI
	.globl	bluestein_single_fwd_len1280_dim1_sp_op_CI_CI
	.p2align	8
	.type	bluestein_single_fwd_len1280_dim1_sp_op_CI_CI,@function
bluestein_single_fwd_len1280_dim1_sp_op_CI_CI: ; @bluestein_single_fwd_len1280_dim1_sp_op_CI_CI
; %bb.0:
	s_load_dwordx4 s[16:19], s[4:5], 0x28
	v_mul_u32_u24_e32 v1, 0x334, v0
	v_add_u32_sdwa v80, s6, v1 dst_sel:DWORD dst_unused:UNUSED_PAD src0_sel:DWORD src1_sel:WORD_1
	v_mov_b32_e32 v81, 0
	s_waitcnt lgkmcnt(0)
	v_cmp_gt_u64_e32 vcc, s[16:17], v[80:81]
	s_and_saveexec_b64 s[0:1], vcc
	s_cbranch_execz .LBB0_10
; %bb.1:
	s_load_dwordx4 s[12:15], s[4:5], 0x18
	s_load_dwordx4 s[0:3], s[4:5], 0x0
	s_movk_i32 s6, 0x50
	v_mul_lo_u16_sdwa v1, v1, s6 dst_sel:DWORD dst_unused:UNUSED_PAD src0_sel:WORD_1 src1_sel:DWORD
	v_sub_u16_e32 v121, v0, v1
	s_waitcnt lgkmcnt(0)
	s_load_dwordx4 s[8:11], s[12:13], 0x0
	v_lshlrev_b32_e32 v120, 3, v121
	v_or_b32_e32 v119, 0x280, v121
	s_movk_i32 s12, 0x1000
	v_lshlrev_b32_e32 v42, 3, v119
	s_waitcnt lgkmcnt(0)
	v_mad_u64_u32 v[0:1], s[6:7], s10, v80, 0
	v_mad_u64_u32 v[2:3], s[6:7], s8, v121, 0
	v_add_u32_e32 v37, 0x800, v120
	v_add_u32_e32 v38, 0x1000, v120
	v_mad_u64_u32 v[4:5], s[6:7], s11, v80, v[1:2]
	v_mad_u64_u32 v[16:17], s[10:11], s8, v119, 0
	;; [unrolled: 1-line block ×3, first 2 shown]
	v_mov_b32_e32 v1, v4
	v_lshlrev_b64 v[0:1], 3, v[0:1]
	v_mov_b32_e32 v6, s19
	v_mov_b32_e32 v3, v5
	v_add_co_u32_e32 v23, vcc, s18, v0
	v_addc_co_u32_e32 v24, vcc, v6, v1, vcc
	v_lshlrev_b64 v[0:1], 3, v[2:3]
	v_mov_b32_e32 v2, s1
	v_add_co_u32_e32 v0, vcc, v23, v0
	v_addc_co_u32_e32 v1, vcc, v24, v1, vcc
	v_add_co_u32_e32 v31, vcc, s0, v120
	s_mul_i32 s6, s9, 0x280
	s_mul_hi_u32 s7, s8, 0x280
	v_addc_co_u32_e32 v32, vcc, 0, v2, vcc
	s_add_i32 s6, s7, s6
	s_mul_i32 s7, s8, 0x280
	v_mov_b32_e32 v3, s6
	v_add_co_u32_e32 v2, vcc, s7, v0
	v_addc_co_u32_e32 v3, vcc, v1, v3, vcc
	v_mov_b32_e32 v5, s6
	v_add_co_u32_e32 v4, vcc, s7, v2
	v_addc_co_u32_e32 v5, vcc, v3, v5, vcc
	v_mov_b32_e32 v7, s6
	v_add_co_u32_e32 v6, vcc, s7, v4
	v_addc_co_u32_e32 v7, vcc, v5, v7, vcc
	global_load_dwordx2 v[8:9], v[0:1], off
	global_load_dwordx2 v[10:11], v[2:3], off
	;; [unrolled: 1-line block ×4, first 2 shown]
	global_load_dwordx2 v[99:100], v120, s[0:1]
	global_load_dwordx2 v[97:98], v120, s[0:1] offset:640
	global_load_dwordx2 v[95:96], v120, s[0:1] offset:1280
	;; [unrolled: 1-line block ×3, first 2 shown]
	v_mov_b32_e32 v1, s6
	v_add_co_u32_e32 v0, vcc, s7, v6
	v_addc_co_u32_e32 v1, vcc, v7, v1, vcc
	global_load_dwordx2 v[2:3], v[0:1], off
	v_mov_b32_e32 v4, s6
	v_add_co_u32_e32 v0, vcc, s7, v0
	v_addc_co_u32_e32 v1, vcc, v1, v4, vcc
	global_load_dwordx2 v[4:5], v[0:1], off
	;; [unrolled: 4-line block ×3, first 2 shown]
	global_load_dwordx2 v[93:94], v120, s[0:1] offset:2560
	global_load_dwordx2 v[89:90], v120, s[0:1] offset:3200
	;; [unrolled: 1-line block ×3, first 2 shown]
	v_mov_b32_e32 v18, s6
	v_add_co_u32_e32 v0, vcc, s7, v0
	v_addc_co_u32_e32 v1, vcc, v1, v18, vcc
	global_load_dwordx2 v[18:19], v[0:1], off
	global_load_dwordx2 v[83:84], v42, s[0:1]
	v_add_u32_e32 v39, 0x1800, v120
	s_waitcnt vmcnt(1)
	v_mad_u64_u32 v[20:21], s[10:11], s9, v119, v[17:18]
	v_add_co_u32_e32 v21, vcc, s12, v31
	v_mov_b32_e32 v17, v20
	v_mov_b32_e32 v20, 0x500
	v_mad_u64_u32 v[0:1], s[10:11], s8, v20, v[0:1]
	v_lshlrev_b64 v[16:17], 3, v[16:17]
	v_addc_co_u32_e32 v22, vcc, 0, v32, vcc
	v_add_co_u32_e32 v16, vcc, v23, v16
	s_mul_i32 s8, s9, 0x500
	v_addc_co_u32_e32 v17, vcc, v24, v17, vcc
	v_add_u32_e32 v1, s8, v1
	global_load_dwordx2 v[23:24], v[0:1], off
	v_mov_b32_e32 v20, s6
	v_add_co_u32_e32 v0, vcc, s7, v0
	v_addc_co_u32_e32 v1, vcc, v1, v20, vcc
	global_load_dwordx2 v[25:26], v[0:1], off
	v_add_co_u32_e32 v0, vcc, s7, v0
	v_addc_co_u32_e32 v1, vcc, v1, v20, vcc
	global_load_dwordx2 v[85:86], v[21:22], off offset:384
	s_movk_i32 s8, 0x2000
	global_load_dwordx2 v[16:17], v[16:17], off
	s_nop 0
	global_load_dwordx2 v[27:28], v[0:1], off
	global_load_dwordx2 v[87:88], v[21:22], off offset:1664
	global_load_dwordx2 v[78:79], v[21:22], off offset:2304
	;; [unrolled: 1-line block ×3, first 2 shown]
	v_add_co_u32_e32 v0, vcc, s7, v0
	v_addc_co_u32_e32 v1, vcc, v1, v20, vcc
	global_load_dwordx2 v[29:30], v[0:1], off
	global_load_dwordx2 v[74:75], v[21:22], off offset:3584
	v_add_co_u32_e32 v0, vcc, s7, v0
	v_addc_co_u32_e32 v1, vcc, v1, v20, vcc
	v_add_co_u32_e32 v31, vcc, s8, v31
	v_addc_co_u32_e32 v32, vcc, 0, v32, vcc
	global_load_dwordx2 v[20:21], v[0:1], off
	v_mov_b32_e32 v22, s6
	v_add_co_u32_e32 v0, vcc, s7, v0
	v_addc_co_u32_e32 v1, vcc, v1, v22, vcc
	global_load_dwordx2 v[72:73], v[31:32], off offset:128
	global_load_dwordx2 v[33:34], v[0:1], off
	global_load_dwordx2 v[70:71], v[31:32], off offset:768
	v_add_co_u32_e32 v0, vcc, s7, v0
	v_addc_co_u32_e32 v1, vcc, v1, v22, vcc
	global_load_dwordx2 v[35:36], v[0:1], off
	global_load_dwordx2 v[68:69], v[31:32], off offset:1408
	v_mul_f32_e32 v0, v9, v100
	v_mul_f32_e32 v1, v8, v100
	v_fmac_f32_e32 v0, v8, v99
	v_fma_f32 v1, v9, v99, -v1
	v_mul_f32_e32 v8, v11, v98
	v_mul_f32_e32 v9, v10, v98
	v_fmac_f32_e32 v8, v10, v97
	v_fma_f32 v9, v11, v97, -v9
	s_load_dwordx2 s[6:7], s[4:5], 0x38
	s_load_dwordx4 s[8:11], s[14:15], 0x0
	ds_write2_b64 v120, v[0:1], v[8:9] offset1:80
	v_mul_f32_e32 v0, v13, v96
	v_mul_f32_e32 v1, v12, v96
	;; [unrolled: 1-line block ×4, first 2 shown]
	v_fmac_f32_e32 v0, v12, v95
	v_fma_f32 v1, v13, v95, -v1
	v_fmac_f32_e32 v8, v14, v91
	v_fma_f32 v9, v15, v91, -v9
	ds_write2_b64 v120, v[0:1], v[8:9] offset0:160 offset1:240
	v_mul_f32_e32 v0, v3, v94
	v_mul_f32_e32 v1, v2, v94
	v_fmac_f32_e32 v0, v2, v93
	v_fma_f32 v1, v3, v93, -v1
	v_mul_f32_e32 v2, v5, v90
	v_mul_f32_e32 v3, v4, v90
	v_fmac_f32_e32 v2, v4, v89
	v_fma_f32 v3, v5, v89, -v3
	ds_write2_b64 v37, v[0:1], v[2:3] offset0:64 offset1:144
	v_mul_f32_e32 v0, v7, v82
	v_mul_f32_e32 v1, v6, v82
	v_fmac_f32_e32 v0, v6, v81
	v_fma_f32 v1, v7, v81, -v1
	v_cmp_gt_u16_e32 vcc, 16, v121
	s_waitcnt vmcnt(13)
	v_mul_f32_e32 v2, v19, v86
	v_mul_f32_e32 v3, v18, v86
	v_fmac_f32_e32 v2, v18, v85
	v_fma_f32 v3, v19, v85, -v3
	v_add_u32_e32 v18, 0xc00, v120
	ds_write2_b64 v18, v[0:1], v[2:3] offset0:96 offset1:176
	s_waitcnt vmcnt(12)
	v_mul_f32_e32 v0, v17, v84
	v_mul_f32_e32 v1, v16, v84
	s_waitcnt vmcnt(10)
	v_mul_f32_e32 v2, v24, v88
	v_mul_f32_e32 v3, v23, v88
	v_fmac_f32_e32 v0, v16, v83
	v_fma_f32 v1, v17, v83, -v1
	v_fmac_f32_e32 v2, v23, v87
	v_fma_f32 v3, v24, v87, -v3
	ds_write2_b64 v38, v[0:1], v[2:3] offset0:128 offset1:208
	s_waitcnt vmcnt(9)
	v_mul_f32_e32 v0, v26, v79
	v_mul_f32_e32 v1, v25, v79
	s_waitcnt vmcnt(8)
	v_mul_f32_e32 v2, v28, v77
	v_mul_f32_e32 v3, v27, v77
	v_fmac_f32_e32 v0, v25, v78
	v_fma_f32 v1, v26, v78, -v1
	v_fmac_f32_e32 v2, v27, v76
	v_fma_f32 v3, v28, v76, -v3
	;; [unrolled: 11-line block ×3, first 2 shown]
	v_add_u32_e32 v24, 0x1c00, v120
	ds_write2_b64 v24, v[0:1], v[2:3] offset0:64 offset1:144
	s_waitcnt vmcnt(2)
	v_mul_f32_e32 v0, v34, v71
	v_mul_f32_e32 v1, v33, v71
	s_waitcnt vmcnt(0)
	v_mul_f32_e32 v2, v36, v69
	v_mul_f32_e32 v3, v35, v69
	v_fmac_f32_e32 v0, v33, v70
	v_fma_f32 v1, v34, v70, -v1
	v_fmac_f32_e32 v2, v35, v68
	v_fma_f32 v3, v36, v68, -v3
	v_add_u32_e32 v34, 0x2000, v120
	ds_write2_b64 v34, v[0:1], v[2:3] offset0:96 offset1:176
	s_waitcnt lgkmcnt(0)
	s_barrier
	ds_read2_b64 v[0:3], v120 offset1:80
	ds_read2_b64 v[4:7], v120 offset0:160 offset1:240
	ds_read2_b64 v[8:11], v37 offset0:64 offset1:144
	;; [unrolled: 1-line block ×7, first 2 shown]
	s_waitcnt lgkmcnt(4)
	v_sub_f32_e32 v12, v0, v12
	v_sub_f32_e32 v13, v1, v13
	;; [unrolled: 1-line block ×3, first 2 shown]
	s_waitcnt lgkmcnt(1)
	v_sub_f32_e32 v24, v8, v24
	v_sub_f32_e32 v25, v9, v25
	;; [unrolled: 1-line block ×3, first 2 shown]
	v_fma_f32 v8, v8, 2.0, -v24
	v_fma_f32 v9, v9, 2.0, -v25
	v_sub_f32_e32 v20, v4, v20
	v_sub_f32_e32 v26, v10, v26
	;; [unrolled: 1-line block ×4, first 2 shown]
	s_waitcnt lgkmcnt(0)
	v_sub_f32_e32 v28, v16, v28
	v_sub_f32_e32 v29, v17, v29
	;; [unrolled: 1-line block ×3, first 2 shown]
	v_add_f32_e32 v24, v13, v24
	v_fma_f32 v0, v0, 2.0, -v12
	v_fma_f32 v1, v1, 2.0, -v13
	v_fma_f32 v10, v10, 2.0, -v26
	v_fma_f32 v11, v11, 2.0, -v27
	v_sub_f32_e32 v22, v6, v22
	v_sub_f32_e32 v23, v7, v23
	v_fma_f32 v16, v16, 2.0, -v28
	v_fma_f32 v17, v17, 2.0, -v29
	v_sub_f32_e32 v30, v18, v30
	v_sub_f32_e32 v31, v19, v31
	v_fma_f32 v12, v12, 2.0, -v25
	v_fma_f32 v13, v13, 2.0, -v24
	v_sub_f32_e32 v29, v20, v29
	v_add_f32_e32 v28, v21, v28
	v_sub_f32_e32 v27, v14, v27
	v_add_f32_e32 v26, v15, v26
	v_mov_b32_e32 v40, v25
	v_mov_b32_e32 v41, v24
	v_fma_f32 v2, v2, 2.0, -v14
	v_fma_f32 v3, v3, 2.0, -v15
	;; [unrolled: 1-line block ×10, first 2 shown]
	v_sub_f32_e32 v31, v22, v31
	v_add_f32_e32 v30, v23, v30
	v_mov_b32_e32 v32, v12
	v_mov_b32_e32 v33, v13
	v_fmac_f32_e32 v40, 0x3f3504f3, v29
	v_fmac_f32_e32 v41, 0x3f3504f3, v28
	v_fma_f32 v6, v6, 2.0, -v22
	v_fma_f32 v7, v7, 2.0, -v23
	;; [unrolled: 1-line block ×4, first 2 shown]
	v_fmac_f32_e32 v32, 0xbf3504f3, v20
	v_fmac_f32_e32 v33, 0xbf3504f3, v21
	;; [unrolled: 1-line block ×4, first 2 shown]
	v_mov_b32_e32 v28, v14
	v_mov_b32_e32 v29, v15
	v_sub_f32_e32 v8, v0, v8
	v_sub_f32_e32 v9, v1, v9
	;; [unrolled: 1-line block ×4, first 2 shown]
	v_fmac_f32_e32 v32, 0xbf3504f3, v21
	v_fmac_f32_e32 v33, 0x3f3504f3, v20
	;; [unrolled: 1-line block ×4, first 2 shown]
	v_fma_f32 v12, v12, 2.0, -v32
	v_fma_f32 v13, v13, 2.0, -v33
	v_sub_f32_e32 v35, v8, v17
	v_add_f32_e32 v36, v9, v16
	v_fmac_f32_e32 v28, 0xbf3504f3, v23
	v_fmac_f32_e32 v29, 0x3f3504f3, v22
	v_fma_f32 v0, v0, 2.0, -v8
	v_fma_f32 v1, v1, 2.0, -v9
	v_fma_f32 v4, v4, 2.0, -v16
	v_fma_f32 v5, v5, 2.0, -v17
	v_sub_f32_e32 v10, v2, v10
	v_sub_f32_e32 v11, v3, v11
	;; [unrolled: 1-line block ×4, first 2 shown]
	v_fma_f32 v16, v8, 2.0, -v35
	v_fma_f32 v17, v9, 2.0, -v36
	;; [unrolled: 1-line block ×4, first 2 shown]
	v_mov_b32_e32 v8, v12
	v_mov_b32_e32 v9, v13
	v_sub_f32_e32 v43, v10, v19
	v_add_f32_e32 v44, v11, v18
	v_fmac_f32_e32 v8, 0xbf6c835e, v14
	v_fmac_f32_e32 v9, 0xbf6c835e, v15
	v_fma_f32 v6, v6, 2.0, -v18
	v_fma_f32 v7, v7, 2.0, -v19
	;; [unrolled: 1-line block ×4, first 2 shown]
	v_mov_b32_e32 v45, v27
	v_mov_b32_e32 v46, v26
	v_fmac_f32_e32 v8, 0xbec3ef15, v15
	v_fmac_f32_e32 v9, 0x3ec3ef15, v14
	v_mov_b32_e32 v14, v16
	v_mov_b32_e32 v15, v17
	v_fmac_f32_e32 v45, 0x3f3504f3, v31
	v_fmac_f32_e32 v46, 0x3f3504f3, v30
	;; [unrolled: 1-line block ×4, first 2 shown]
	v_fma_f32 v20, v25, 2.0, -v40
	v_fma_f32 v21, v24, 2.0, -v41
	v_fmac_f32_e32 v45, 0xbf3504f3, v30
	v_fmac_f32_e32 v46, 0x3f3504f3, v31
	;; [unrolled: 1-line block ×4, first 2 shown]
	v_fma_f32 v2, v2, 2.0, -v10
	v_fma_f32 v3, v3, 2.0, -v11
	v_fma_f32 v22, v27, 2.0, -v45
	v_fma_f32 v23, v26, 2.0, -v46
	v_fma_f32 v18, v16, 2.0, -v14
	v_fma_f32 v19, v17, 2.0, -v15
	v_mov_b32_e32 v16, v20
	v_mov_b32_e32 v17, v21
	v_sub_f32_e32 v4, v0, v4
	v_sub_f32_e32 v5, v1, v5
	;; [unrolled: 1-line block ×4, first 2 shown]
	v_fmac_f32_e32 v16, 0xbec3ef15, v22
	v_fmac_f32_e32 v17, 0xbec3ef15, v23
	v_fma_f32 v0, v0, 2.0, -v4
	v_fma_f32 v1, v1, 2.0, -v5
	;; [unrolled: 1-line block ×4, first 2 shown]
	v_fmac_f32_e32 v16, 0xbf6c835e, v23
	v_fmac_f32_e32 v17, 0x3f6c835e, v22
	v_sub_f32_e32 v22, v4, v25
	v_add_f32_e32 v23, v5, v24
	v_sub_f32_e32 v6, v0, v2
	v_sub_f32_e32 v7, v1, v3
	v_fma_f32 v26, v4, 2.0, -v22
	v_fma_f32 v27, v5, 2.0, -v23
	v_mov_b32_e32 v24, v32
	v_mov_b32_e32 v25, v33
	;; [unrolled: 1-line block ×6, first 2 shown]
	v_fma_f32 v10, v0, 2.0, -v6
	v_fmac_f32_e32 v24, 0x3ec3ef15, v28
	v_fmac_f32_e32 v25, 0x3ec3ef15, v29
	;; [unrolled: 1-line block ×6, first 2 shown]
	v_lshlrev_b16_e32 v0, 4, v121
	v_fma_f32 v11, v1, 2.0, -v7
	v_fma_f32 v12, v12, 2.0, -v8
	;; [unrolled: 1-line block ×3, first 2 shown]
	v_fmac_f32_e32 v24, 0xbf6c835e, v29
	v_fmac_f32_e32 v25, 0x3f6c835e, v28
	;; [unrolled: 1-line block ×6, first 2 shown]
	v_lshlrev_b32_e32 v43, 3, v0
	v_fma_f32 v20, v20, 2.0, -v16
	v_fma_f32 v21, v21, 2.0, -v17
	;; [unrolled: 1-line block ×8, first 2 shown]
	s_barrier
	ds_write_b128 v43, v[10:13]
	ds_write_b128 v43, v[18:21] offset:16
	ds_write_b128 v43, v[26:29] offset:32
	;; [unrolled: 1-line block ×7, first 2 shown]
	v_add_u32_e32 v0, 0x400, v120
	v_add_u32_e32 v10, 0x1400, v120
	s_waitcnt lgkmcnt(0)
	s_barrier
	ds_read2_b64 v[6:9], v120 offset1:80
	ds_read2_b64 v[0:3], v0 offset0:32 offset1:128
	ds_read2_b64 v[18:21], v38 offset1:80
	ds_read2_b64 v[10:13], v10 offset0:32 offset1:128
	;; [unrolled: 2-line block ×3, first 2 shown]
	ds_read2_b64 v[14:17], v39 offset0:80 offset1:160
	ds_read_b64 v[38:39], v120 offset:9472
                                        ; implicit-def: $vgpr24
                                        ; implicit-def: $vgpr40
                                        ; implicit-def: $vgpr34
	s_and_saveexec_b64 s[4:5], vcc
	s_cbranch_execz .LBB0_3
; %bb.2:
	v_add_u32_e32 v4, 0x180, v120
	ds_read2st64_b64 v[22:25], v4 offset0:3 offset1:7
	ds_read_b64 v[40:41], v120 offset:10112
	ds_read2st64_b64 v[34:37], v4 offset0:11 offset1:15
	s_waitcnt lgkmcnt(2)
	v_mov_b32_e32 v4, v22
	v_mov_b32_e32 v5, v23
.LBB0_3:
	s_or_b64 exec, exec, s[4:5]
	v_lshlrev_b32_e32 v22, 5, v121
	v_and_b32_e32 v22, 0x1e0, v22
	v_and_b32_e32 v48, 15, v121
	global_load_dwordx2 v[101:102], v22, s[2:3]
	global_load_dwordx2 v[103:104], v22, s[2:3] offset:8
	global_load_dwordx2 v[107:108], v22, s[2:3] offset:16
	;; [unrolled: 1-line block ×6, first 2 shown]
	global_load_dword v122, v22, s[2:3] offset:28
	v_lshlrev_b32_e32 v22, 5, v48
	global_load_dword v123, v22, s[2:3]
	v_add_u32_e32 v49, 0x50, v121
	s_waitcnt vmcnt(0) lgkmcnt(0)
	s_barrier
	v_add_u32_e32 v50, 0xa0, v121
	v_mul_f32_e32 v46, v3, v102
	v_mul_f32_e32 v51, v19, v104
	;; [unrolled: 1-line block ×6, first 2 shown]
	v_fma_f32 v51, v18, v110, -v51
	v_fma_f32 v12, v12, v114, -v53
	v_mul_f32_e32 v56, v30, v106
	v_fma_f32 v2, v2, v123, -v46
	v_mul_f32_e32 v59, v21, v104
	v_fmac_f32_e32 v52, v19, v110
	v_add_f32_e32 v18, v6, v2
	v_add_f32_e32 v19, v51, v12
	v_mul_f32_e32 v55, v31, v106
	v_mul_f32_e32 v60, v20, v104
	v_mul_f32_e32 v22, v24, v109
	v_fma_f32 v59, v20, v110, -v59
	v_fmac_f32_e32 v56, v31, v112
	v_fmac_f32_e32 v47, v3, v123
	v_add_f32_e32 v20, v18, v51
	v_fma_f32 v18, -0.5, v19, v6
	v_mul_f32_e32 v57, v27, v102
	v_mul_f32_e32 v58, v26, v102
	;; [unrolled: 1-line block ×5, first 2 shown]
	v_fmac_f32_e32 v60, v21, v110
	v_fma_f32 v21, v30, v112, -v55
	v_fmac_f32_e32 v54, v13, v114
	v_fmac_f32_e32 v22, v25, v101
	v_sub_f32_e32 v25, v47, v56
	v_add_f32_e32 v19, v20, v12
	v_mov_b32_e32 v20, v18
	v_mul_f32_e32 v63, v33, v106
	v_mul_f32_e32 v115, v10, v104
	v_fmac_f32_e32 v64, v33, v112
	v_fma_f32 v33, v26, v123, -v57
	v_fmac_f32_e32 v58, v27, v123
	v_fma_f32 v13, v10, v110, -v67
	v_fma_f32 v10, v24, v101, -v125
	v_add_f32_e32 v24, v19, v21
	v_fmac_f32_e32 v20, 0x3f737871, v25
	v_sub_f32_e32 v19, v52, v54
	v_sub_f32_e32 v26, v2, v51
	;; [unrolled: 1-line block ×3, first 2 shown]
	v_fmac_f32_e32 v18, 0xbf737871, v25
	v_fmac_f32_e32 v20, 0x3f167918, v19
	v_add_f32_e32 v26, v26, v27
	v_fmac_f32_e32 v18, 0xbf167918, v19
	v_fmac_f32_e32 v20, 0x3e9e377a, v26
	;; [unrolled: 1-line block ×3, first 2 shown]
	v_add_f32_e32 v26, v2, v21
	v_fma_f32 v6, -0.5, v26, v6
	v_mov_b32_e32 v26, v6
	v_fmac_f32_e32 v26, 0xbf737871, v19
	v_fmac_f32_e32 v6, 0x3f737871, v19
	v_add_f32_e32 v19, v7, v47
	v_add_f32_e32 v19, v19, v52
	;; [unrolled: 1-line block ×3, first 2 shown]
	v_mul_f32_e32 v65, v29, v102
	v_fmac_f32_e32 v26, 0x3f167918, v25
	v_fmac_f32_e32 v6, 0xbf167918, v25
	v_add_f32_e32 v25, v19, v56
	v_add_f32_e32 v19, v52, v54
	v_mul_f32_e32 v66, v28, v102
	v_fma_f32 v57, v28, v123, -v65
	v_sub_f32_e32 v27, v51, v2
	v_sub_f32_e32 v28, v12, v21
	v_fma_f32 v19, -0.5, v19, v7
	v_add_f32_e32 v27, v27, v28
	v_sub_f32_e32 v2, v2, v21
	v_mov_b32_e32 v21, v19
	v_fmac_f32_e32 v26, 0x3e9e377a, v27
	v_fmac_f32_e32 v6, 0x3e9e377a, v27
	;; [unrolled: 1-line block ×3, first 2 shown]
	v_sub_f32_e32 v12, v51, v12
	v_sub_f32_e32 v27, v47, v52
	;; [unrolled: 1-line block ×3, first 2 shown]
	v_fmac_f32_e32 v19, 0x3f737871, v2
	v_fmac_f32_e32 v21, 0xbf167918, v12
	v_add_f32_e32 v27, v27, v28
	v_fmac_f32_e32 v19, 0x3f167918, v12
	v_fmac_f32_e32 v21, 0x3e9e377a, v27
	;; [unrolled: 1-line block ×3, first 2 shown]
	v_add_f32_e32 v27, v47, v56
	v_fma_f32 v7, -0.5, v27, v7
	v_mov_b32_e32 v27, v7
	v_fmac_f32_e32 v27, 0x3f737871, v12
	v_fmac_f32_e32 v7, 0xbf737871, v12
	v_mul_f32_e32 v61, v15, v108
	v_fmac_f32_e32 v27, 0xbf167918, v2
	v_fmac_f32_e32 v7, 0x3f167918, v2
	v_add_f32_e32 v2, v8, v33
	v_fmac_f32_e32 v66, v29, v123
	v_fma_f32 v3, v14, v114, -v61
	v_sub_f32_e32 v28, v52, v47
	v_sub_f32_e32 v29, v54, v56
	v_add_f32_e32 v2, v2, v59
	v_fma_f32 v55, v32, v112, -v63
	v_add_f32_e32 v28, v28, v29
	v_add_f32_e32 v2, v2, v3
	v_fmac_f32_e32 v27, 0x3e9e377a, v28
	v_fmac_f32_e32 v7, 0x3e9e377a, v28
	v_add_f32_e32 v28, v2, v55
	v_add_f32_e32 v2, v59, v3
	v_mul_f32_e32 v62, v14, v108
	v_fma_f32 v30, -0.5, v2, v8
	v_fmac_f32_e32 v62, v15, v114
	v_sub_f32_e32 v2, v58, v64
	v_mov_b32_e32 v32, v30
	v_fmac_f32_e32 v32, 0x3f737871, v2
	v_sub_f32_e32 v12, v60, v62
	v_sub_f32_e32 v29, v33, v59
	;; [unrolled: 1-line block ×3, first 2 shown]
	v_fmac_f32_e32 v30, 0xbf737871, v2
	v_fmac_f32_e32 v32, 0x3f167918, v12
	v_add_f32_e32 v29, v29, v31
	v_fmac_f32_e32 v30, 0xbf167918, v12
	v_fmac_f32_e32 v32, 0x3e9e377a, v29
	;; [unrolled: 1-line block ×3, first 2 shown]
	v_add_f32_e32 v29, v33, v55
	v_mul_f32_e32 v126, v35, v113
	v_fma_f32 v8, -0.5, v29, v8
	v_mul_f32_e32 v23, v34, v113
	v_fmac_f32_e32 v115, v11, v110
	v_fma_f32 v11, v34, v103, -v126
	v_mov_b32_e32 v34, v8
	v_fmac_f32_e32 v34, 0xbf737871, v12
	v_fmac_f32_e32 v8, 0x3f737871, v12
	;; [unrolled: 1-line block ×4, first 2 shown]
	v_add_f32_e32 v2, v9, v58
	v_sub_f32_e32 v29, v59, v33
	v_sub_f32_e32 v31, v3, v55
	v_add_f32_e32 v2, v2, v60
	v_add_f32_e32 v29, v29, v31
	;; [unrolled: 1-line block ×3, first 2 shown]
	v_fmac_f32_e32 v34, 0x3e9e377a, v29
	v_fmac_f32_e32 v8, 0x3e9e377a, v29
	v_add_f32_e32 v29, v2, v64
	v_add_f32_e32 v2, v60, v62
	v_fma_f32 v31, -0.5, v2, v9
	v_sub_f32_e32 v2, v33, v55
	v_mov_b32_e32 v33, v31
	v_fmac_f32_e32 v23, v35, v103
	v_fmac_f32_e32 v33, 0xbf737871, v2
	v_sub_f32_e32 v3, v59, v3
	v_sub_f32_e32 v12, v58, v60
	;; [unrolled: 1-line block ×3, first 2 shown]
	v_fmac_f32_e32 v31, 0x3f737871, v2
	v_fmac_f32_e32 v33, 0xbf167918, v3
	v_add_f32_e32 v12, v12, v35
	v_fmac_f32_e32 v31, 0x3f167918, v3
	v_fmac_f32_e32 v33, 0x3e9e377a, v12
	;; [unrolled: 1-line block ×3, first 2 shown]
	v_add_f32_e32 v12, v58, v64
	v_fmac_f32_e32 v9, -0.5, v12
	v_mov_b32_e32 v35, v9
	v_fmac_f32_e32 v35, 0x3f737871, v3
	v_fmac_f32_e32 v9, 0xbf737871, v3
	v_mul_f32_e32 v116, v17, v108
	v_fmac_f32_e32 v35, 0xbf167918, v2
	v_fmac_f32_e32 v9, 0x3f167918, v2
	v_add_f32_e32 v2, v0, v57
	v_mul_f32_e32 v118, v39, v106
	v_mul_f32_e32 v127, v37, v111
	v_fma_f32 v14, v16, v114, -v116
	v_add_f32_e32 v2, v2, v13
	v_mul_f32_e32 v117, v16, v108
	v_mul_f32_e32 v44, v36, v111
	v_fma_f32 v15, v38, v112, -v118
	v_fma_f32 v16, v36, v107, -v127
	v_sub_f32_e32 v12, v60, v58
	v_sub_f32_e32 v36, v62, v64
	v_add_f32_e32 v2, v2, v14
	v_mul_f32_e32 v124, v38, v106
	v_add_f32_e32 v12, v12, v36
	v_add_f32_e32 v36, v2, v15
	;; [unrolled: 1-line block ×3, first 2 shown]
	v_mul_f32_e32 v128, v41, v122
	v_fmac_f32_e32 v124, v39, v112
	v_fma_f32 v38, -0.5, v2, v0
	v_mul_f32_e32 v45, v40, v122
	v_fmac_f32_e32 v117, v17, v114
	v_fma_f32 v17, v40, v105, -v128
	v_sub_f32_e32 v2, v66, v124
	v_mov_b32_e32 v40, v38
	v_fmac_f32_e32 v44, v37, v107
	v_fmac_f32_e32 v35, 0x3e9e377a, v12
	;; [unrolled: 1-line block ×4, first 2 shown]
	v_sub_f32_e32 v3, v115, v117
	v_sub_f32_e32 v12, v57, v13
	;; [unrolled: 1-line block ×3, first 2 shown]
	v_fmac_f32_e32 v38, 0xbf737871, v2
	v_fmac_f32_e32 v40, 0x3f167918, v3
	v_add_f32_e32 v12, v12, v37
	v_fmac_f32_e32 v38, 0xbf167918, v3
	v_fmac_f32_e32 v40, 0x3e9e377a, v12
	;; [unrolled: 1-line block ×3, first 2 shown]
	v_add_f32_e32 v12, v57, v15
	v_fma_f32 v0, -0.5, v12, v0
	v_mov_b32_e32 v46, v0
	v_fmac_f32_e32 v46, 0xbf737871, v3
	v_fmac_f32_e32 v0, 0x3f737871, v3
	;; [unrolled: 1-line block ×4, first 2 shown]
	v_add_f32_e32 v2, v1, v66
	v_add_f32_e32 v2, v2, v115
	v_sub_f32_e32 v12, v13, v57
	v_sub_f32_e32 v37, v14, v15
	v_add_f32_e32 v2, v2, v117
	v_add_f32_e32 v12, v12, v37
	v_add_f32_e32 v37, v2, v124
	v_add_f32_e32 v2, v115, v117
	v_fma_f32 v39, -0.5, v2, v1
	v_fmac_f32_e32 v45, v41, v105
	v_sub_f32_e32 v2, v57, v15
	v_mov_b32_e32 v41, v39
	v_fmac_f32_e32 v46, 0x3e9e377a, v12
	v_fmac_f32_e32 v0, 0x3e9e377a, v12
	;; [unrolled: 1-line block ×3, first 2 shown]
	v_sub_f32_e32 v3, v13, v14
	v_sub_f32_e32 v12, v66, v115
	;; [unrolled: 1-line block ×3, first 2 shown]
	v_fmac_f32_e32 v39, 0x3f737871, v2
	v_fmac_f32_e32 v41, 0xbf167918, v3
	v_add_f32_e32 v12, v12, v13
	v_fmac_f32_e32 v39, 0x3f167918, v3
	v_fmac_f32_e32 v41, 0x3e9e377a, v12
	;; [unrolled: 1-line block ×3, first 2 shown]
	v_add_f32_e32 v12, v66, v124
	v_fmac_f32_e32 v1, -0.5, v12
	v_mov_b32_e32 v47, v1
	v_fmac_f32_e32 v47, 0x3f737871, v3
	v_fmac_f32_e32 v1, 0xbf737871, v3
	v_fmac_f32_e32 v47, 0xbf167918, v2
	v_fmac_f32_e32 v1, 0x3f167918, v2
	v_add_f32_e32 v2, v11, v16
	v_sub_f32_e32 v12, v115, v66
	v_sub_f32_e32 v13, v117, v124
	v_fma_f32 v115, -0.5, v2, v4
	v_add_f32_e32 v12, v12, v13
	v_sub_f32_e32 v3, v22, v45
	v_mov_b32_e32 v2, v115
	v_fmac_f32_e32 v47, 0x3e9e377a, v12
	v_fmac_f32_e32 v1, 0x3e9e377a, v12
	;; [unrolled: 1-line block ×3, first 2 shown]
	v_sub_f32_e32 v13, v23, v44
	v_sub_f32_e32 v12, v10, v11
	;; [unrolled: 1-line block ×3, first 2 shown]
	v_fmac_f32_e32 v115, 0xbf737871, v3
	v_fmac_f32_e32 v2, 0x3f167918, v13
	v_add_f32_e32 v12, v12, v14
	v_fmac_f32_e32 v115, 0xbf167918, v13
	v_fmac_f32_e32 v2, 0x3e9e377a, v12
	;; [unrolled: 1-line block ×3, first 2 shown]
	v_add_f32_e32 v12, v10, v17
	v_fma_f32 v14, -0.5, v12, v4
	v_mov_b32_e32 v12, v14
	v_fmac_f32_e32 v12, 0xbf737871, v13
	v_fmac_f32_e32 v14, 0x3f737871, v13
	;; [unrolled: 1-line block ×4, first 2 shown]
	v_add_f32_e32 v3, v23, v44
	v_sub_f32_e32 v15, v11, v10
	v_sub_f32_e32 v51, v16, v17
	v_fma_f32 v116, -0.5, v3, v5
	v_add_f32_e32 v15, v15, v51
	v_sub_f32_e32 v51, v10, v17
	v_mov_b32_e32 v3, v116
	v_fmac_f32_e32 v12, 0x3e9e377a, v15
	v_fmac_f32_e32 v14, 0x3e9e377a, v15
	;; [unrolled: 1-line block ×3, first 2 shown]
	v_sub_f32_e32 v52, v11, v16
	v_sub_f32_e32 v13, v22, v23
	;; [unrolled: 1-line block ×3, first 2 shown]
	v_fmac_f32_e32 v116, 0x3f737871, v51
	v_fmac_f32_e32 v3, 0xbf167918, v52
	v_add_f32_e32 v13, v13, v15
	v_fmac_f32_e32 v116, 0x3f167918, v52
	v_fmac_f32_e32 v3, 0x3e9e377a, v13
	;; [unrolled: 1-line block ×3, first 2 shown]
	v_add_f32_e32 v13, v22, v45
	v_fma_f32 v15, -0.5, v13, v5
	v_mov_b32_e32 v13, v15
	v_fmac_f32_e32 v13, 0x3f737871, v52
	v_fmac_f32_e32 v15, 0xbf737871, v52
	;; [unrolled: 1-line block ×4, first 2 shown]
	v_lshrrev_b32_e32 v51, 4, v121
	v_mul_u32_u24_e32 v51, 0x50, v51
	v_or_b32_e32 v51, v51, v48
	v_lshlrev_b32_e32 v124, 3, v51
	ds_write2_b64 v124, v[24:25], v[20:21] offset1:16
	ds_write2_b64 v124, v[26:27], v[6:7] offset0:32 offset1:48
	ds_write_b64 v124, v[18:19] offset:512
	v_lshrrev_b32_e32 v6, 4, v49
	v_mul_u32_u24_e32 v6, 0x50, v6
	v_or_b32_e32 v6, v6, v48
	v_lshlrev_b32_e32 v125, 3, v6
	v_lshrrev_b32_e32 v6, 4, v50
	v_sub_f32_e32 v53, v23, v22
	v_sub_f32_e32 v54, v44, v45
	v_mul_u32_u24_e32 v6, 0x50, v6
	v_add_f32_e32 v53, v53, v54
	v_or_b32_e32 v6, v6, v48
	v_fmac_f32_e32 v13, 0x3e9e377a, v53
	v_fmac_f32_e32 v15, 0x3e9e377a, v53
	v_lshlrev_b32_e32 v126, 3, v6
	ds_write2_b64 v125, v[28:29], v[32:33] offset1:16
	ds_write2_b64 v125, v[34:35], v[8:9] offset0:32 offset1:48
	ds_write_b64 v125, v[30:31] offset:512
	ds_write2_b64 v126, v[36:37], v[40:41] offset1:16
	ds_write2_b64 v126, v[46:47], v[0:1] offset0:32 offset1:48
	ds_write_b64 v126, v[38:39] offset:512
	s_and_saveexec_b64 s[4:5], vcc
	s_cbranch_execz .LBB0_5
; %bb.4:
	v_add_f32_e32 v0, v5, v22
	v_add_f32_e32 v0, v0, v23
	;; [unrolled: 1-line block ×8, first 2 shown]
	v_add_u32_e32 v4, 0x2000, v120
	ds_write2_b64 v4, v[0:1], v[2:3] offset0:176 offset1:192
	ds_write2_b64 v4, v[12:13], v[14:15] offset0:208 offset1:224
	ds_write_b64 v120, v[115:116] offset:10112
.LBB0_5:
	s_or_b64 exec, exec, s[4:5]
	v_mov_b32_e32 v0, s2
	s_movk_i32 s4, 0x78
	v_mov_b32_e32 v1, s3
	v_mad_u64_u32 v[0:1], s[2:3], v121, s4, v[0:1]
	s_waitcnt lgkmcnt(0)
	s_barrier
	global_load_dwordx4 v[28:31], v[0:1], off offset:512
	global_load_dwordx4 v[20:23], v[0:1], off offset:528
	;; [unrolled: 1-line block ×7, first 2 shown]
	global_load_dwordx2 v[117:118], v[0:1], off offset:624
	v_add_u32_e32 v0, 0x800, v120
	ds_read2_b64 v[38:41], v120 offset1:80
	ds_read2_b64 v[44:47], v120 offset0:160 offset1:240
	v_add_u32_e32 v37, 0xc00, v120
	v_add_u32_e32 v48, 0x1000, v120
	;; [unrolled: 1-line block ×5, first 2 shown]
	ds_read2_b64 v[53:56], v0 offset0:64 offset1:144
	ds_read2_b64 v[57:60], v37 offset0:96 offset1:176
	;; [unrolled: 1-line block ×6, first 2 shown]
	s_add_u32 s2, s0, 0x2800
	s_addc_u32 s3, s1, 0
	s_movk_i32 s4, 0x1000
	s_waitcnt vmcnt(7) lgkmcnt(7)
	v_mul_f32_e32 v50, v40, v29
	s_waitcnt lgkmcnt(6)
	v_mul_f32_e32 v51, v45, v31
	v_mul_f32_e32 v65, v44, v31
	s_waitcnt vmcnt(4) lgkmcnt(4)
	v_mul_f32_e32 v146, v59, v5
	v_mul_f32_e32 v67, v46, v21
	;; [unrolled: 1-line block ×6, first 2 shown]
	s_waitcnt lgkmcnt(3)
	v_mul_f32_e32 v147, v62, v7
	v_mul_f32_e32 v148, v61, v7
	s_waitcnt vmcnt(3)
	v_mul_f32_e32 v150, v63, v33
	s_waitcnt vmcnt(2) lgkmcnt(2)
	v_mul_f32_e32 v154, v129, v25
	s_waitcnt lgkmcnt(1)
	v_mul_f32_e32 v155, v132, v27
	v_mul_f32_e32 v156, v131, v27
	s_waitcnt vmcnt(1)
	v_mul_f32_e32 v158, v133, v17
	v_fmac_f32_e32 v146, v60, v4
	s_waitcnt vmcnt(0) lgkmcnt(0)
	v_mul_f32_e32 v60, v137, v118
	v_mul_f32_e32 v49, v41, v29
	;; [unrolled: 1-line block ×12, first 2 shown]
	v_fmac_f32_e32 v50, v41, v28
	v_fma_f32 v41, v44, v30, -v51
	v_fmac_f32_e32 v65, v45, v30
	v_fmac_f32_e32 v67, v47, v20
	v_fma_f32 v45, v53, v22, -v139
	v_fmac_f32_e32 v140, v54, v22
	;; [unrolled: 3-line block ×3, first 2 shown]
	v_fmac_f32_e32 v150, v64, v32
	v_fmac_f32_e32 v154, v130, v24
	v_fma_f32 v56, v131, v26, -v155
	v_fmac_f32_e32 v156, v132, v26
	v_fmac_f32_e32 v158, v134, v16
	;; [unrolled: 1-line block ×3, first 2 shown]
	v_mul_f32_e32 v157, v134, v17
	v_fma_f32 v40, v40, v28, -v49
	v_fma_f32 v44, v46, v20, -v66
	;; [unrolled: 1-line block ×4, first 2 shown]
	v_fmac_f32_e32 v144, v58, v10
	v_fma_f32 v53, v63, v32, -v149
	v_fma_f32 v54, v127, v34, -v151
	v_fmac_f32_e32 v152, v128, v34
	v_fma_f32 v55, v129, v24, -v153
	v_fma_f32 v58, v135, v18, -v159
	v_fmac_f32_e32 v160, v136, v18
	v_sub_f32_e32 v51, v38, v51
	v_sub_f32_e32 v61, v39, v148
	;; [unrolled: 1-line block ×8, first 2 shown]
	v_fma_f32 v49, v59, v4, -v145
	v_fma_f32 v57, v133, v16, -v157
	v_mul_f32_e32 v59, v138, v118
	v_fma_f32 v45, v45, 2.0, -v56
	v_fma_f32 v63, v140, 2.0, -v62
	v_sub_f32_e32 v54, v41, v54
	v_sub_f32_e32 v64, v65, v152
	;; [unrolled: 1-line block ×5, first 2 shown]
	v_fma_f32 v50, v50, 2.0, -v128
	v_fma_f32 v130, v142, 2.0, -v129
	;; [unrolled: 1-line block ×4, first 2 shown]
	v_sub_f32_e32 v62, v51, v62
	v_add_f32_e32 v56, v61, v56
	v_fma_f32 v59, v137, v117, -v59
	v_fma_f32 v38, v38, 2.0, -v51
	v_fma_f32 v47, v47, 2.0, -v58
	;; [unrolled: 1-line block ×3, first 2 shown]
	v_sub_f32_e32 v57, v46, v57
	v_sub_f32_e32 v55, v44, v55
	v_fma_f32 v51, v51, 2.0, -v62
	v_sub_f32_e32 v66, v54, v66
	v_add_f32_e32 v58, v64, v58
	v_sub_f32_e32 v130, v50, v130
	v_sub_f32_e32 v129, v53, v129
	;; [unrolled: 1-line block ×3, first 2 shown]
	v_mov_b32_e32 v140, v56
	v_fma_f32 v39, v39, 2.0, -v61
	v_fma_f32 v41, v41, 2.0, -v54
	v_fma_f32 v65, v65, 2.0, -v64
	v_fma_f32 v40, v40, 2.0, -v53
	v_fma_f32 v46, v46, 2.0, -v57
	v_sub_f32_e32 v59, v49, v59
	v_fma_f32 v61, v61, 2.0, -v56
	v_fma_f32 v54, v54, 2.0, -v66
	;; [unrolled: 1-line block ×3, first 2 shown]
	v_add_f32_e32 v57, v128, v57
	v_fma_f32 v53, v53, 2.0, -v129
	v_fma_f32 v67, v67, 2.0, -v132
	v_sub_f32_e32 v60, v55, v60
	v_mov_b32_e32 v135, v51
	v_mov_b32_e32 v139, v62
	v_fmac_f32_e32 v140, 0x3f3504f3, v58
	v_fma_f32 v44, v44, 2.0, -v55
	v_fma_f32 v49, v49, 2.0, -v59
	v_sub_f32_e32 v45, v38, v45
	v_sub_f32_e32 v127, v65, v127
	v_fma_f32 v64, v64, 2.0, -v58
	v_fma_f32 v128, v128, 2.0, -v57
	v_add_f32_e32 v59, v131, v59
	v_fma_f32 v55, v55, 2.0, -v60
	v_fmac_f32_e32 v135, 0xbf3504f3, v54
	v_mov_b32_e32 v136, v61
	v_fmac_f32_e32 v139, 0x3f3504f3, v66
	v_fmac_f32_e32 v140, 0x3f3504f3, v66
	v_sub_f32_e32 v66, v50, v67
	v_mov_b32_e32 v67, v53
	v_sub_f32_e32 v63, v39, v63
	v_fma_f32 v65, v65, 2.0, -v127
	v_sub_f32_e32 v46, v40, v46
	v_sub_f32_e32 v49, v44, v49
	v_fma_f32 v131, v131, 2.0, -v59
	v_fmac_f32_e32 v136, 0xbf3504f3, v64
	v_fmac_f32_e32 v135, 0xbf3504f3, v64
	v_sub_f32_e32 v137, v45, v127
	v_fmac_f32_e32 v67, 0xbf3504f3, v55
	v_mov_b32_e32 v127, v128
	v_fma_f32 v39, v39, 2.0, -v63
	v_sub_f32_e32 v47, v41, v47
	v_fma_f32 v40, v40, 2.0, -v46
	v_fma_f32 v44, v44, 2.0, -v49
	v_fmac_f32_e32 v136, 0x3f3504f3, v54
	v_fma_f32 v51, v51, 2.0, -v135
	v_fmac_f32_e32 v127, 0xbf3504f3, v131
	v_fmac_f32_e32 v67, 0xbf3504f3, v131
	v_fma_f32 v41, v41, 2.0, -v47
	v_sub_f32_e32 v65, v39, v65
	v_fma_f32 v54, v61, 2.0, -v136
	v_add_f32_e32 v138, v63, v47
	v_sub_f32_e32 v64, v40, v44
	v_fmac_f32_e32 v127, 0x3f3504f3, v55
	v_fma_f32 v47, v53, 2.0, -v67
	v_mov_b32_e32 v44, v51
	v_fma_f32 v38, v38, 2.0, -v45
	v_fma_f32 v134, v39, 2.0, -v65
	;; [unrolled: 1-line block ×6, first 2 shown]
	v_sub_f32_e32 v131, v46, v132
	v_add_f32_e32 v132, v130, v49
	v_fmac_f32_e32 v44, 0xbf6c835e, v47
	v_mov_b32_e32 v45, v54
	v_fma_f32 v55, v130, 2.0, -v132
	v_fmac_f32_e32 v45, 0xbf6c835e, v50
	v_fmac_f32_e32 v44, 0xbec3ef15, v50
	v_mov_b32_e32 v50, v63
	v_fma_f32 v53, v46, 2.0, -v131
	v_fmac_f32_e32 v50, 0xbf3504f3, v55
	v_mov_b32_e32 v142, v57
	v_fmac_f32_e32 v45, 0x3ec3ef15, v47
	v_fmac_f32_e32 v50, 0x3f3504f3, v53
	v_sub_f32_e32 v133, v38, v41
	v_mov_b32_e32 v141, v129
	v_fmac_f32_e32 v142, 0x3f3504f3, v59
	v_fma_f32 v47, v54, 2.0, -v45
	v_fma_f32 v54, v63, 2.0, -v50
	v_mov_b32_e32 v63, v135
	v_fma_f32 v41, v38, 2.0, -v133
	v_fma_f32 v38, v40, 2.0, -v64
	v_fmac_f32_e32 v141, 0x3f3504f3, v60
	v_fmac_f32_e32 v142, 0x3f3504f3, v60
	v_add_f32_e32 v60, v65, v64
	v_fmac_f32_e32 v63, 0x3ec3ef15, v67
	v_mov_b32_e32 v64, v136
	v_fmac_f32_e32 v139, 0xbf3504f3, v58
	v_mov_b32_e32 v49, v61
	v_fmac_f32_e32 v64, 0x3ec3ef15, v127
	v_fmac_f32_e32 v63, 0xbf6c835e, v127
	v_mov_b32_e32 v127, v137
	v_mov_b32_e32 v128, v138
	v_fma_f32 v58, v62, 2.0, -v139
	v_fma_f32 v62, v56, 2.0, -v140
	v_fmac_f32_e32 v141, 0xbf3504f3, v59
	v_fmac_f32_e32 v49, 0xbf3504f3, v53
	;; [unrolled: 1-line block ×4, first 2 shown]
	v_fma_f32 v59, v129, 2.0, -v141
	v_fma_f32 v57, v57, 2.0, -v142
	v_fmac_f32_e32 v49, 0xbf3504f3, v55
	v_mov_b32_e32 v55, v58
	v_mov_b32_e32 v56, v62
	v_fmac_f32_e32 v127, 0xbf3504f3, v132
	v_fmac_f32_e32 v128, 0x3f3504f3, v131
	v_mov_b32_e32 v131, v139
	v_mov_b32_e32 v132, v140
	v_sub_f32_e32 v38, v41, v38
	v_sub_f32_e32 v39, v134, v39
	v_fmac_f32_e32 v55, 0xbec3ef15, v59
	v_fmac_f32_e32 v56, 0xbec3ef15, v57
	v_fmac_f32_e32 v131, 0x3f6c835e, v141
	v_fmac_f32_e32 v132, 0x3f6c835e, v142
	v_fma_f32 v40, v41, 2.0, -v38
	v_fma_f32 v41, v134, 2.0, -v39
	;; [unrolled: 1-line block ×3, first 2 shown]
	v_fmac_f32_e32 v55, 0xbf6c835e, v57
	v_fmac_f32_e32 v56, 0x3f6c835e, v59
	v_sub_f32_e32 v59, v133, v66
	v_fmac_f32_e32 v64, 0x3f6c835e, v67
	v_fmac_f32_e32 v131, 0xbec3ef15, v142
	;; [unrolled: 1-line block ×3, first 2 shown]
	v_fma_f32 v53, v61, 2.0, -v49
	v_fma_f32 v57, v58, 2.0, -v55
	v_fma_f32 v58, v62, 2.0, -v56
	v_fma_f32 v61, v133, 2.0, -v59
	v_fma_f32 v62, v65, 2.0, -v60
	v_fma_f32 v65, v135, 2.0, -v63
	v_fma_f32 v66, v136, 2.0, -v64
	v_fma_f32 v129, v137, 2.0, -v127
	v_fma_f32 v130, v138, 2.0, -v128
	v_fma_f32 v133, v139, 2.0, -v131
	v_fma_f32 v134, v140, 2.0, -v132
	ds_write2_b64 v120, v[40:41], v[46:47] offset1:80
	ds_write2_b64 v120, v[53:54], v[57:58] offset0:160 offset1:240
	ds_write2_b64 v0, v[61:62], v[65:66] offset0:64 offset1:144
	;; [unrolled: 1-line block ×7, first 2 shown]
	v_lshlrev_b32_e32 v38, 3, v121
	s_waitcnt lgkmcnt(0)
	s_barrier
	global_load_dwordx2 v[44:45], v38, s[2:3]
	global_load_dwordx2 v[46:47], v38, s[2:3] offset:640
	global_load_dwordx2 v[49:50], v38, s[2:3] offset:1280
	;; [unrolled: 1-line block ×6, first 2 shown]
	v_mov_b32_e32 v39, s3
	v_add_co_u32_e64 v40, s[0:1], s2, v38
	v_addc_co_u32_e64 v41, s[0:1], 0, v39, s[0:1]
	v_add_co_u32_e64 v38, s[0:1], s4, v40
	v_addc_co_u32_e64 v39, s[0:1], 0, v41, s[0:1]
	global_load_dwordx2 v[61:62], v[38:39], off offset:384
	global_load_dwordx2 v[63:64], v42, s[2:3]
	global_load_dwordx2 v[65:66], v[38:39], off offset:1664
	global_load_dwordx2 v[127:128], v[38:39], off offset:2304
                                        ; kill: killed $sgpr2 killed $sgpr3
                                        ; kill: killed $vgpr42
	global_load_dwordx2 v[129:130], v[38:39], off offset:2944
	global_load_dwordx2 v[131:132], v[38:39], off offset:3584
	s_movk_i32 s0, 0x2000
	v_add_co_u32_e64 v133, s[0:1], s0, v40
	v_addc_co_u32_e64 v134, s[0:1], 0, v41, s[0:1]
	global_load_dwordx2 v[135:136], v[133:134], off offset:128
	global_load_dwordx2 v[137:138], v[133:134], off offset:768
	ds_read2_b64 v[38:41], v120 offset1:80
	global_load_dwordx2 v[133:134], v[133:134], off offset:1408
	s_waitcnt vmcnt(15) lgkmcnt(0)
	v_mul_f32_e32 v42, v39, v45
	v_mul_f32_e32 v140, v38, v45
	v_fma_f32 v139, v38, v44, -v42
	v_fmac_f32_e32 v140, v39, v44
	s_waitcnt vmcnt(14)
	v_mul_f32_e32 v38, v41, v47
	v_mul_f32_e32 v39, v40, v47
	v_fma_f32 v38, v40, v46, -v38
	v_fmac_f32_e32 v39, v41, v46
	ds_write2_b64 v120, v[139:140], v[38:39] offset1:80
	ds_read2_b64 v[38:41], v120 offset0:160 offset1:240
	ds_read2_b64 v[44:47], v0 offset0:64 offset1:144
	s_waitcnt vmcnt(13) lgkmcnt(1)
	v_mul_f32_e32 v42, v39, v50
	v_mul_f32_e32 v140, v38, v50
	v_fma_f32 v139, v38, v49, -v42
	v_fmac_f32_e32 v140, v39, v49
	s_waitcnt vmcnt(12)
	v_mul_f32_e32 v38, v41, v54
	v_mul_f32_e32 v39, v40, v54
	v_fma_f32 v38, v40, v53, -v38
	v_fmac_f32_e32 v39, v41, v53
	ds_write2_b64 v120, v[139:140], v[38:39] offset0:160 offset1:240
	s_waitcnt vmcnt(11) lgkmcnt(1)
	v_mul_f32_e32 v38, v45, v56
	v_fma_f32 v49, v44, v55, -v38
	v_mul_f32_e32 v50, v44, v56
	ds_read2_b64 v[38:41], v37 offset0:96 offset1:176
	v_fmac_f32_e32 v50, v45, v55
	s_waitcnt vmcnt(10)
	v_mul_f32_e32 v42, v47, v58
	v_mul_f32_e32 v45, v46, v58
	v_fma_f32 v44, v46, v57, -v42
	v_fmac_f32_e32 v45, v47, v57
	ds_write2_b64 v0, v[49:50], v[44:45] offset0:64 offset1:144
	ds_read2_b64 v[44:47], v48 offset0:128 offset1:208
	s_waitcnt vmcnt(9) lgkmcnt(2)
	v_mul_f32_e32 v42, v39, v60
	v_mul_f32_e32 v50, v38, v60
	v_fma_f32 v49, v38, v59, -v42
	v_fmac_f32_e32 v50, v39, v59
	s_waitcnt vmcnt(8)
	v_mul_f32_e32 v38, v41, v62
	v_mul_f32_e32 v39, v40, v62
	v_fma_f32 v38, v40, v61, -v38
	v_fmac_f32_e32 v39, v41, v61
	ds_write2_b64 v37, v[49:50], v[38:39] offset0:96 offset1:176
	s_waitcnt vmcnt(7) lgkmcnt(1)
	v_mul_f32_e32 v38, v45, v64
	v_fma_f32 v49, v44, v63, -v38
	v_mul_f32_e32 v50, v44, v64
	ds_read2_b64 v[38:41], v1 offset0:32 offset1:112
	v_fmac_f32_e32 v50, v45, v63
	s_waitcnt vmcnt(6)
	v_mul_f32_e32 v42, v47, v66
	v_mul_f32_e32 v45, v46, v66
	v_fma_f32 v44, v46, v65, -v42
	v_fmac_f32_e32 v45, v47, v65
	ds_write2_b64 v48, v[49:50], v[44:45] offset0:128 offset1:208
	ds_read2_b64 v[44:47], v36 offset0:64 offset1:144
	s_waitcnt vmcnt(5) lgkmcnt(2)
	v_mul_f32_e32 v42, v39, v128
	v_mul_f32_e32 v50, v38, v128
	v_fma_f32 v49, v38, v127, -v42
	v_fmac_f32_e32 v50, v39, v127
	s_waitcnt vmcnt(4)
	v_mul_f32_e32 v38, v41, v130
	v_mul_f32_e32 v39, v40, v130
	v_fma_f32 v38, v40, v129, -v38
	v_fmac_f32_e32 v39, v41, v129
	ds_write2_b64 v1, v[49:50], v[38:39] offset0:32 offset1:112
	s_waitcnt vmcnt(3) lgkmcnt(1)
	v_mul_f32_e32 v38, v45, v132
	v_fma_f32 v49, v44, v131, -v38
	ds_read2_b64 v[38:41], v52 offset0:96 offset1:176
	v_mul_f32_e32 v50, v44, v132
	v_fmac_f32_e32 v50, v45, v131
	s_waitcnt vmcnt(2)
	v_mul_f32_e32 v42, v47, v136
	v_mul_f32_e32 v45, v46, v136
	v_fma_f32 v44, v46, v135, -v42
	v_fmac_f32_e32 v45, v47, v135
	ds_write2_b64 v36, v[49:50], v[44:45] offset0:64 offset1:144
	s_waitcnt vmcnt(1) lgkmcnt(1)
	v_mul_f32_e32 v42, v39, v138
	v_mul_f32_e32 v45, v38, v138
	v_fma_f32 v44, v38, v137, -v42
	v_fmac_f32_e32 v45, v39, v137
	s_waitcnt vmcnt(0)
	v_mul_f32_e32 v38, v41, v134
	v_mul_f32_e32 v39, v40, v134
	v_fma_f32 v38, v40, v133, -v38
	v_fmac_f32_e32 v39, v41, v133
	ds_write2_b64 v52, v[44:45], v[38:39] offset0:96 offset1:176
	s_waitcnt lgkmcnt(0)
	s_barrier
	ds_read2_b64 v[38:41], v120 offset1:80
	ds_read2_b64 v[44:47], v120 offset0:160 offset1:240
	ds_read2_b64 v[53:56], v0 offset0:64 offset1:144
	;; [unrolled: 1-line block ×7, first 2 shown]
	s_waitcnt lgkmcnt(4)
	v_sub_f32_e32 v36, v38, v57
	v_sub_f32_e32 v37, v39, v58
	;; [unrolled: 1-line block ×3, first 2 shown]
	s_waitcnt lgkmcnt(1)
	v_sub_f32_e32 v42, v53, v131
	v_sub_f32_e32 v49, v54, v132
	v_fma_f32 v50, v53, 2.0, -v42
	v_fma_f32 v51, v54, 2.0, -v49
	v_sub_f32_e32 v53, v44, v127
	v_sub_f32_e32 v54, v45, v128
	s_waitcnt lgkmcnt(0)
	v_sub_f32_e32 v57, v61, v135
	v_sub_f32_e32 v58, v62, v136
	;; [unrolled: 1-line block ×5, first 2 shown]
	v_add_f32_e32 v49, v36, v49
	v_sub_f32_e32 v42, v37, v42
	v_fma_f32 v38, v38, 2.0, -v36
	v_fma_f32 v39, v39, 2.0, -v37
	;; [unrolled: 1-line block ×6, first 2 shown]
	v_sub_f32_e32 v67, v46, v129
	v_sub_f32_e32 v127, v47, v130
	v_sub_f32_e32 v128, v63, v137
	v_sub_f32_e32 v129, v64, v138
	v_fma_f32 v36, v36, 2.0, -v49
	v_fma_f32 v37, v37, 2.0, -v42
	v_add_f32_e32 v58, v53, v58
	v_sub_f32_e32 v57, v54, v57
	v_add_f32_e32 v66, v59, v66
	v_sub_f32_e32 v65, v60, v65
	v_fma_f32 v44, v44, 2.0, -v53
	v_fma_f32 v45, v45, 2.0, -v54
	;; [unrolled: 1-line block ×10, first 2 shown]
	v_add_f32_e32 v129, v67, v129
	v_sub_f32_e32 v128, v127, v128
	v_mov_b32_e32 v133, v36
	v_mov_b32_e32 v134, v37
	v_fma_f32 v46, v46, 2.0, -v67
	v_fma_f32 v47, v47, 2.0, -v127
	;; [unrolled: 1-line block ×4, first 2 shown]
	v_fmac_f32_e32 v133, 0xbf3504f3, v53
	v_fmac_f32_e32 v134, 0xbf3504f3, v54
	v_mov_b32_e32 v140, v59
	v_mov_b32_e32 v141, v60
	v_sub_f32_e32 v55, v40, v55
	v_sub_f32_e32 v56, v41, v56
	v_sub_f32_e32 v63, v46, v63
	v_sub_f32_e32 v64, v47, v64
	v_fmac_f32_e32 v133, 0x3f3504f3, v54
	v_fmac_f32_e32 v134, 0xbf3504f3, v53
	v_mov_b32_e32 v137, v49
	v_mov_b32_e32 v138, v42
	v_fmac_f32_e32 v140, 0xbf3504f3, v67
	v_fmac_f32_e32 v141, 0xbf3504f3, v127
	v_sub_f32_e32 v50, v38, v50
	v_sub_f32_e32 v51, v39, v51
	;; [unrolled: 1-line block ×4, first 2 shown]
	v_fma_f32 v40, v40, 2.0, -v55
	v_fma_f32 v41, v41, 2.0, -v56
	;; [unrolled: 1-line block ×6, first 2 shown]
	v_fmac_f32_e32 v137, 0x3f3504f3, v58
	v_fmac_f32_e32 v138, 0x3f3504f3, v57
	;; [unrolled: 1-line block ×4, first 2 shown]
	v_fma_f32 v38, v38, 2.0, -v50
	v_fma_f32 v39, v39, 2.0, -v51
	;; [unrolled: 1-line block ×4, first 2 shown]
	v_add_f32_e32 v135, v50, v62
	v_sub_f32_e32 v136, v51, v61
	v_fmac_f32_e32 v137, 0x3f3504f3, v57
	v_fmac_f32_e32 v138, 0xbf3504f3, v58
	v_sub_f32_e32 v131, v40, v46
	v_sub_f32_e32 v139, v41, v47
	v_fma_f32 v57, v59, 2.0, -v140
	v_fma_f32 v58, v60, 2.0, -v141
	v_mov_b32_e32 v46, v36
	v_mov_b32_e32 v47, v37
	v_sub_f32_e32 v130, v38, v44
	v_sub_f32_e32 v132, v39, v45
	v_fma_f32 v50, v50, 2.0, -v135
	v_fma_f32 v51, v51, 2.0, -v136
	v_add_f32_e32 v67, v55, v64
	v_sub_f32_e32 v142, v56, v63
	v_mov_b32_e32 v143, v66
	v_mov_b32_e32 v144, v65
	v_fmac_f32_e32 v46, 0xbf6c835e, v57
	v_fmac_f32_e32 v47, 0xbf6c835e, v58
	v_fma_f32 v38, v38, 2.0, -v130
	v_fma_f32 v39, v39, 2.0, -v132
	;; [unrolled: 1-line block ×6, first 2 shown]
	v_fmac_f32_e32 v143, 0x3f3504f3, v129
	v_fmac_f32_e32 v144, 0x3f3504f3, v128
	;; [unrolled: 1-line block ×4, first 2 shown]
	v_mov_b32_e32 v57, v50
	v_mov_b32_e32 v58, v51
	v_fma_f32 v49, v49, 2.0, -v137
	v_fma_f32 v42, v42, 2.0, -v138
	v_fmac_f32_e32 v143, 0x3f3504f3, v128
	v_fmac_f32_e32 v144, 0xbf3504f3, v129
	v_sub_f32_e32 v44, v38, v40
	v_sub_f32_e32 v45, v39, v41
	v_fmac_f32_e32 v57, 0xbf3504f3, v59
	v_fmac_f32_e32 v58, 0xbf3504f3, v60
	v_add_f32_e32 v127, v130, v139
	v_fma_f32 v63, v66, 2.0, -v143
	v_fma_f32 v64, v65, 2.0, -v144
	;; [unrolled: 1-line block ×6, first 2 shown]
	v_fmac_f32_e32 v57, 0x3f3504f3, v60
	v_fmac_f32_e32 v58, 0xbf3504f3, v59
	v_mov_b32_e32 v59, v49
	v_mov_b32_e32 v60, v42
	v_sub_f32_e32 v128, v132, v131
	v_fma_f32 v131, v130, 2.0, -v127
	v_mov_b32_e32 v129, v133
	v_mov_b32_e32 v130, v134
	v_mov_b32_e32 v36, v135
	v_mov_b32_e32 v37, v136
	v_mov_b32_e32 v38, v137
	v_mov_b32_e32 v39, v138
	v_fmac_f32_e32 v59, 0xbec3ef15, v63
	v_fmac_f32_e32 v60, 0xbec3ef15, v64
	;; [unrolled: 1-line block ×16, first 2 shown]
	v_fma_f32 v61, v50, 2.0, -v57
	v_fma_f32 v62, v51, 2.0, -v58
	;; [unrolled: 1-line block ×11, first 2 shown]
	s_barrier
	ds_write_b128 v43, v[53:56]
	ds_write_b128 v43, v[61:64] offset:16
	ds_write_b128 v43, v[131:134] offset:32
	;; [unrolled: 1-line block ×7, first 2 shown]
	v_add_u32_e32 v36, 0x400, v120
	s_waitcnt lgkmcnt(0)
	s_barrier
	ds_read2_b64 v[44:47], v120 offset1:80
	ds_read2_b64 v[40:43], v36 offset0:32 offset1:128
	ds_read2_b64 v[64:67], v48 offset1:80
	v_add_u32_e32 v36, 0x1400, v120
	ds_read2_b64 v[48:51], v36 offset0:32 offset1:128
	ds_read2_b64 v[60:63], v52 offset1:80
	ds_read2_b64 v[56:59], v0 offset0:80 offset1:160
	ds_read2_b64 v[52:55], v1 offset0:80 offset1:160
	ds_read_b64 v[36:37], v120 offset:9472
	s_and_saveexec_b64 s[0:1], vcc
	s_cbranch_execz .LBB0_7
; %bb.6:
	v_add_u32_e32 v12, 0x180, v120
	ds_read2st64_b64 v[0:3], v12 offset0:3 offset1:7
	ds_read_b64 v[115:116], v120 offset:10112
	ds_read2st64_b64 v[12:15], v12 offset0:11 offset1:15
	s_waitcnt lgkmcnt(2)
	v_mov_b32_e32 v38, v0
	v_mov_b32_e32 v39, v1
.LBB0_7:
	s_or_b64 exec, exec, s[0:1]
	s_waitcnt lgkmcnt(6)
	v_mul_f32_e32 v0, v102, v42
	v_fma_f32 v128, v123, v43, -v0
	s_waitcnt lgkmcnt(5)
	v_mul_f32_e32 v129, v104, v65
	v_mul_f32_e32 v0, v104, v64
	v_fmac_f32_e32 v129, v110, v64
	v_fma_f32 v64, v110, v65, -v0
	s_waitcnt lgkmcnt(4)
	v_mul_f32_e32 v65, v108, v51
	v_mul_f32_e32 v0, v108, v50
	v_fmac_f32_e32 v65, v114, v50
	v_fma_f32 v50, v114, v51, -v0
	s_waitcnt lgkmcnt(3)
	v_mul_f32_e32 v0, v106, v60
	v_mul_f32_e32 v127, v102, v43
	;; [unrolled: 1-line block ×3, first 2 shown]
	v_fma_f32 v51, v112, v61, -v0
	s_waitcnt lgkmcnt(2)
	v_mul_f32_e32 v0, v102, v56
	v_fmac_f32_e32 v43, v112, v60
	v_mul_f32_e32 v60, v102, v57
	v_fma_f32 v61, v123, v57, -v0
	v_mul_f32_e32 v57, v104, v67
	v_mul_f32_e32 v0, v104, v66
	v_fmac_f32_e32 v57, v110, v66
	v_fma_f32 v66, v110, v67, -v0
	s_waitcnt lgkmcnt(1)
	v_mul_f32_e32 v0, v108, v52
	v_fma_f32 v130, v114, v53, -v0
	v_mul_f32_e32 v131, v106, v63
	v_mul_f32_e32 v0, v106, v62
	v_fmac_f32_e32 v131, v112, v62
	v_fma_f32 v62, v112, v63, -v0
	v_mul_f32_e32 v63, v102, v59
	v_mul_f32_e32 v0, v102, v58
	v_fmac_f32_e32 v127, v123, v42
	v_fmac_f32_e32 v60, v123, v56
	v_fmac_f32_e32 v63, v123, v58
	v_fma_f32 v102, v123, v59, -v0
	v_mul_f32_e32 v123, v104, v49
	v_mul_f32_e32 v0, v104, v48
	;; [unrolled: 1-line block ×3, first 2 shown]
	v_fmac_f32_e32 v123, v110, v48
	v_fma_f32 v104, v110, v49, -v0
	v_mul_f32_e32 v110, v108, v55
	v_mul_f32_e32 v0, v108, v54
	v_fmac_f32_e32 v67, v114, v52
	v_fmac_f32_e32 v110, v114, v54
	v_fma_f32 v108, v114, v55, -v0
	s_waitcnt lgkmcnt(0)
	v_mul_f32_e32 v114, v106, v37
	v_add_f32_e32 v1, v129, v65
	v_fmac_f32_e32 v114, v112, v36
	v_mul_f32_e32 v0, v106, v36
	v_fma_f32 v36, -0.5, v1, v44
	v_sub_f32_e32 v1, v128, v51
	v_mov_b32_e32 v42, v36
	v_fma_f32 v106, v112, v37, -v0
	v_fmac_f32_e32 v42, 0xbf737871, v1
	v_sub_f32_e32 v37, v64, v50
	v_sub_f32_e32 v48, v127, v129
	;; [unrolled: 1-line block ×3, first 2 shown]
	v_fmac_f32_e32 v36, 0x3f737871, v1
	v_fmac_f32_e32 v42, 0xbf167918, v37
	v_add_f32_e32 v48, v48, v49
	v_fmac_f32_e32 v36, 0x3f167918, v37
	v_fmac_f32_e32 v42, 0x3e9e377a, v48
	;; [unrolled: 1-line block ×3, first 2 shown]
	v_add_f32_e32 v48, v127, v43
	v_add_f32_e32 v0, v44, v127
	v_fma_f32 v44, -0.5, v48, v44
	v_mov_b32_e32 v48, v44
	v_add_f32_e32 v0, v0, v129
	v_fmac_f32_e32 v48, 0x3f737871, v37
	v_fmac_f32_e32 v44, 0xbf737871, v37
	v_add_f32_e32 v37, v64, v50
	v_add_f32_e32 v0, v0, v65
	v_sub_f32_e32 v49, v129, v127
	v_sub_f32_e32 v52, v65, v43
	v_fma_f32 v37, -0.5, v37, v45
	v_add_f32_e32 v0, v0, v43
	v_fmac_f32_e32 v48, 0xbf167918, v1
	v_add_f32_e32 v49, v49, v52
	v_fmac_f32_e32 v44, 0x3f167918, v1
	v_sub_f32_e32 v52, v127, v43
	v_mov_b32_e32 v43, v37
	v_fmac_f32_e32 v48, 0x3e9e377a, v49
	v_fmac_f32_e32 v44, 0x3e9e377a, v49
	;; [unrolled: 1-line block ×3, first 2 shown]
	v_sub_f32_e32 v53, v129, v65
	v_sub_f32_e32 v49, v128, v64
	;; [unrolled: 1-line block ×3, first 2 shown]
	v_fmac_f32_e32 v37, 0xbf737871, v52
	v_fmac_f32_e32 v43, 0x3f167918, v53
	v_add_f32_e32 v49, v49, v54
	v_fmac_f32_e32 v37, 0xbf167918, v53
	v_add_f32_e32 v1, v45, v128
	v_fmac_f32_e32 v43, 0x3e9e377a, v49
	v_fmac_f32_e32 v37, 0x3e9e377a, v49
	v_add_f32_e32 v49, v128, v51
	v_add_f32_e32 v1, v1, v64
	v_fma_f32 v45, -0.5, v49, v45
	v_add_f32_e32 v1, v1, v50
	v_mov_b32_e32 v49, v45
	v_add_f32_e32 v1, v1, v51
	v_fmac_f32_e32 v49, 0xbf737871, v53
	v_sub_f32_e32 v50, v50, v51
	v_fmac_f32_e32 v45, 0x3f737871, v53
	v_add_f32_e32 v51, v57, v67
	v_fmac_f32_e32 v49, 0x3f167918, v52
	v_sub_f32_e32 v54, v64, v128
	v_fmac_f32_e32 v45, 0xbf167918, v52
	v_fma_f32 v52, -0.5, v51, v46
	v_add_f32_e32 v50, v54, v50
	v_sub_f32_e32 v51, v61, v62
	v_mov_b32_e32 v54, v52
	v_fmac_f32_e32 v54, 0xbf737871, v51
	v_sub_f32_e32 v53, v66, v130
	v_sub_f32_e32 v55, v60, v57
	;; [unrolled: 1-line block ×3, first 2 shown]
	v_fmac_f32_e32 v52, 0x3f737871, v51
	v_fmac_f32_e32 v54, 0xbf167918, v53
	v_add_f32_e32 v55, v55, v56
	v_fmac_f32_e32 v52, 0x3f167918, v53
	v_fmac_f32_e32 v54, 0x3e9e377a, v55
	;; [unrolled: 1-line block ×3, first 2 shown]
	v_add_f32_e32 v55, v60, v131
	v_fmac_f32_e32 v49, 0x3e9e377a, v50
	v_fmac_f32_e32 v45, 0x3e9e377a, v50
	v_add_f32_e32 v50, v46, v60
	v_fma_f32 v46, -0.5, v55, v46
	v_mov_b32_e32 v56, v46
	v_fmac_f32_e32 v56, 0x3f737871, v53
	v_sub_f32_e32 v55, v57, v60
	v_sub_f32_e32 v58, v67, v131
	v_fmac_f32_e32 v46, 0xbf737871, v53
	v_add_f32_e32 v53, v66, v130
	v_fmac_f32_e32 v56, 0xbf167918, v51
	v_add_f32_e32 v55, v55, v58
	v_fmac_f32_e32 v46, 0x3f167918, v51
	v_fma_f32 v53, -0.5, v53, v47
	v_fmac_f32_e32 v56, 0x3e9e377a, v55
	v_fmac_f32_e32 v46, 0x3e9e377a, v55
	v_sub_f32_e32 v58, v60, v131
	v_mov_b32_e32 v55, v53
	v_add_f32_e32 v50, v50, v57
	v_fmac_f32_e32 v55, 0x3f737871, v58
	v_sub_f32_e32 v59, v57, v67
	v_sub_f32_e32 v57, v61, v66
	;; [unrolled: 1-line block ×3, first 2 shown]
	v_fmac_f32_e32 v53, 0xbf737871, v58
	v_fmac_f32_e32 v55, 0x3f167918, v59
	v_add_f32_e32 v57, v57, v60
	v_fmac_f32_e32 v53, 0xbf167918, v59
	v_fmac_f32_e32 v55, 0x3e9e377a, v57
	;; [unrolled: 1-line block ×3, first 2 shown]
	v_add_f32_e32 v57, v61, v62
	v_add_f32_e32 v51, v47, v61
	v_fmac_f32_e32 v47, -0.5, v57
	v_mov_b32_e32 v57, v47
	v_fmac_f32_e32 v57, 0xbf737871, v59
	v_sub_f32_e32 v60, v66, v61
	v_sub_f32_e32 v61, v130, v62
	v_fmac_f32_e32 v47, 0x3f737871, v59
	v_add_f32_e32 v51, v51, v66
	v_fmac_f32_e32 v57, 0x3f167918, v58
	v_add_f32_e32 v60, v60, v61
	;; [unrolled: 2-line block ×3, first 2 shown]
	v_add_f32_e32 v51, v51, v130
	v_fmac_f32_e32 v57, 0x3e9e377a, v60
	v_fmac_f32_e32 v47, 0x3e9e377a, v60
	v_fma_f32 v60, -0.5, v59, v40
	v_add_f32_e32 v51, v51, v62
	v_sub_f32_e32 v59, v102, v106
	v_mov_b32_e32 v62, v60
	v_fmac_f32_e32 v62, 0xbf737871, v59
	v_sub_f32_e32 v61, v104, v108
	v_sub_f32_e32 v64, v63, v123
	;; [unrolled: 1-line block ×3, first 2 shown]
	v_fmac_f32_e32 v60, 0x3f737871, v59
	v_fmac_f32_e32 v62, 0xbf167918, v61
	v_add_f32_e32 v64, v64, v65
	v_fmac_f32_e32 v60, 0x3f167918, v61
	v_fmac_f32_e32 v62, 0x3e9e377a, v64
	;; [unrolled: 1-line block ×3, first 2 shown]
	v_add_f32_e32 v64, v63, v114
	v_add_f32_e32 v58, v40, v63
	v_fma_f32 v40, -0.5, v64, v40
	v_mov_b32_e32 v64, v40
	v_fmac_f32_e32 v64, 0x3f737871, v61
	v_fmac_f32_e32 v40, 0xbf737871, v61
	v_add_f32_e32 v61, v104, v108
	v_sub_f32_e32 v65, v123, v63
	v_sub_f32_e32 v66, v110, v114
	v_fma_f32 v61, -0.5, v61, v41
	v_add_f32_e32 v58, v58, v123
	v_fmac_f32_e32 v64, 0xbf167918, v59
	v_add_f32_e32 v65, v65, v66
	v_fmac_f32_e32 v40, 0x3f167918, v59
	v_sub_f32_e32 v66, v63, v114
	v_mov_b32_e32 v63, v61
	v_add_f32_e32 v50, v50, v67
	v_add_f32_e32 v58, v58, v110
	v_fmac_f32_e32 v64, 0x3e9e377a, v65
	v_fmac_f32_e32 v40, 0x3e9e377a, v65
	;; [unrolled: 1-line block ×3, first 2 shown]
	v_sub_f32_e32 v67, v123, v110
	v_sub_f32_e32 v65, v102, v104
	;; [unrolled: 1-line block ×3, first 2 shown]
	v_fmac_f32_e32 v61, 0xbf737871, v66
	v_fmac_f32_e32 v63, 0x3f167918, v67
	v_add_f32_e32 v65, v65, v110
	v_fmac_f32_e32 v61, 0xbf167918, v67
	v_fmac_f32_e32 v63, 0x3e9e377a, v65
	;; [unrolled: 1-line block ×3, first 2 shown]
	v_add_f32_e32 v65, v102, v106
	v_add_f32_e32 v59, v41, v102
	v_fmac_f32_e32 v41, -0.5, v65
	v_mov_b32_e32 v65, v41
	v_add_f32_e32 v59, v59, v104
	v_fmac_f32_e32 v65, 0xbf737871, v67
	v_sub_f32_e32 v102, v104, v102
	v_sub_f32_e32 v104, v108, v106
	v_fmac_f32_e32 v41, 0x3f737871, v67
	v_add_f32_e32 v59, v59, v108
	v_fmac_f32_e32 v65, 0x3f167918, v66
	v_add_f32_e32 v102, v102, v104
	;; [unrolled: 2-line block ×3, first 2 shown]
	v_add_f32_e32 v58, v58, v114
	v_add_f32_e32 v59, v59, v106
	v_fmac_f32_e32 v65, 0x3e9e377a, v102
	v_fmac_f32_e32 v41, 0x3e9e377a, v102
	s_barrier
	ds_write2_b64 v124, v[0:1], v[42:43] offset1:16
	ds_write2_b64 v124, v[48:49], v[44:45] offset0:32 offset1:48
	ds_write_b64 v124, v[36:37] offset:512
	ds_write2_b64 v125, v[50:51], v[54:55] offset1:16
	ds_write2_b64 v125, v[56:57], v[46:47] offset0:32 offset1:48
	ds_write_b64 v125, v[52:53] offset:512
	;; [unrolled: 3-line block ×3, first 2 shown]
	s_and_saveexec_b64 s[0:1], vcc
	s_cbranch_execz .LBB0_9
; %bb.8:
	v_mul_f32_e32 v0, v113, v12
	v_mul_f32_e32 v37, v111, v14
	v_fma_f32 v36, v103, v13, -v0
	v_mul_f32_e32 v0, v109, v2
	v_fma_f32 v40, v107, v15, -v37
	;; [unrolled: 2-line block ×3, first 2 shown]
	v_fma_f32 v41, v105, v116, -v37
	v_sub_f32_e32 v1, v36, v0
	v_sub_f32_e32 v37, v40, v41
	v_mul_f32_e32 v43, v111, v15
	v_add_f32_e32 v37, v1, v37
	v_mul_f32_e32 v42, v113, v13
	v_fmac_f32_e32 v43, v107, v14
	v_add_f32_e32 v1, v0, v41
	v_mul_f32_e32 v44, v109, v3
	v_sub_f32_e32 v3, v0, v36
	v_sub_f32_e32 v14, v41, v40
	v_fmac_f32_e32 v42, v103, v12
	v_fma_f32 v1, -0.5, v1, v39
	v_mul_f32_e32 v45, v122, v116
	v_add_f32_e32 v14, v3, v14
	v_add_f32_e32 v3, v36, v40
	v_sub_f32_e32 v12, v42, v43
	v_mov_b32_e32 v13, v1
	v_fmac_f32_e32 v44, v101, v2
	v_fmac_f32_e32 v45, v105, v115
	v_fma_f32 v3, -0.5, v3, v39
	v_fmac_f32_e32 v13, 0x3f737871, v12
	v_sub_f32_e32 v2, v44, v45
	v_fmac_f32_e32 v1, 0xbf737871, v12
	v_mov_b32_e32 v15, v3
	v_fmac_f32_e32 v13, 0xbf167918, v2
	v_fmac_f32_e32 v1, 0x3f167918, v2
	;; [unrolled: 1-line block ×4, first 2 shown]
	v_add_f32_e32 v2, v39, v0
	v_add_f32_e32 v2, v2, v36
	;; [unrolled: 1-line block ×3, first 2 shown]
	v_sub_f32_e32 v39, v0, v41
	v_add_f32_e32 v0, v44, v45
	v_fmac_f32_e32 v13, 0x3e9e377a, v37
	v_fmac_f32_e32 v1, 0x3e9e377a, v37
	;; [unrolled: 1-line block ×4, first 2 shown]
	v_add_f32_e32 v37, v2, v41
	v_sub_f32_e32 v2, v42, v44
	v_sub_f32_e32 v12, v43, v45
	v_fma_f32 v0, -0.5, v0, v38
	v_add_f32_e32 v2, v2, v12
	v_sub_f32_e32 v36, v36, v40
	v_mov_b32_e32 v12, v0
	v_fmac_f32_e32 v12, 0xbf737871, v36
	v_fmac_f32_e32 v0, 0x3f737871, v36
	;; [unrolled: 1-line block ×8, first 2 shown]
	v_sub_f32_e32 v2, v44, v42
	v_sub_f32_e32 v14, v45, v43
	v_add_f32_e32 v40, v2, v14
	v_add_f32_e32 v2, v42, v43
	v_fma_f32 v2, -0.5, v2, v38
	v_mov_b32_e32 v14, v2
	v_fmac_f32_e32 v14, 0x3f737871, v39
	v_fmac_f32_e32 v2, 0xbf737871, v39
	;; [unrolled: 1-line block ×4, first 2 shown]
	v_add_f32_e32 v36, v38, v44
	v_add_f32_e32 v36, v36, v42
	;; [unrolled: 1-line block ×3, first 2 shown]
	v_fmac_f32_e32 v2, 0x3e9e377a, v40
	v_add_f32_e32 v36, v36, v45
	v_add_u32_e32 v38, 0x2000, v120
	v_fmac_f32_e32 v14, 0x3e9e377a, v40
	ds_write2_b64 v38, v[36:37], v[2:3] offset0:176 offset1:192
	ds_write2_b64 v38, v[0:1], v[12:13] offset0:208 offset1:224
	ds_write_b64 v120, v[14:15] offset:10112
.LBB0_9:
	s_or_b64 exec, exec, s[0:1]
	s_waitcnt lgkmcnt(0)
	s_barrier
	ds_read2_b64 v[12:15], v120 offset1:80
	ds_read2_b64 v[36:39], v120 offset0:160 offset1:240
	v_add_u32_e32 v66, 0x800, v120
	ds_read2_b64 v[40:43], v66 offset0:64 offset1:144
	v_add_u32_e32 v67, 0xc00, v120
	;; [unrolled: 2-line block ×3, first 2 shown]
	s_waitcnt lgkmcnt(3)
	v_mul_f32_e32 v101, v29, v15
	ds_read2_b64 v[48:51], v3 offset0:128 offset1:208
	v_add_u32_e32 v2, 0x1800, v120
	v_fmac_f32_e32 v101, v28, v14
	v_mul_f32_e32 v14, v29, v14
	s_waitcnt lgkmcnt(3)
	v_mul_f32_e32 v29, v21, v39
	v_mul_f32_e32 v21, v21, v38
	ds_read2_b64 v[52:55], v2 offset0:32 offset1:112
	v_add_u32_e32 v1, 0x1c00, v120
	v_fmac_f32_e32 v29, v20, v38
	v_fma_f32 v20, v20, v39, -v21
	s_waitcnt lgkmcnt(3)
	v_mul_f32_e32 v21, v23, v41
	v_mul_f32_e32 v23, v23, v40
	ds_read2_b64 v[56:59], v1 offset0:64 offset1:144
	v_fmac_f32_e32 v21, v22, v40
	v_fma_f32 v22, v22, v41, -v23
	v_mul_f32_e32 v23, v9, v43
	v_mul_f32_e32 v9, v9, v42
	v_add_u32_e32 v0, 0x2000, v120
	v_fmac_f32_e32 v23, v8, v42
	v_fma_f32 v8, v8, v43, -v9
	s_waitcnt lgkmcnt(3)
	v_mul_f32_e32 v9, v11, v45
	v_mul_f32_e32 v11, v11, v44
	ds_read2_b64 v[60:63], v0 offset0:96 offset1:176
	v_fmac_f32_e32 v9, v10, v44
	v_fma_f32 v10, v10, v45, -v11
	v_mul_f32_e32 v11, v5, v47
	v_mul_f32_e32 v5, v5, v46
	v_fma_f32 v14, v28, v15, -v14
	v_mul_f32_e32 v15, v31, v37
	v_mul_f32_e32 v28, v31, v36
	v_fmac_f32_e32 v11, v4, v46
	v_fma_f32 v4, v4, v47, -v5
	s_waitcnt lgkmcnt(3)
	v_mul_f32_e32 v5, v7, v49
	v_mul_f32_e32 v7, v7, v48
	v_fmac_f32_e32 v15, v30, v36
	v_fma_f32 v28, v30, v37, -v28
	v_fmac_f32_e32 v5, v6, v48
	v_fma_f32 v6, v6, v49, -v7
	v_mul_f32_e32 v7, v33, v51
	v_mul_f32_e32 v30, v33, v50
	s_waitcnt lgkmcnt(2)
	v_mul_f32_e32 v33, v25, v55
	v_mul_f32_e32 v25, v25, v54
	v_fmac_f32_e32 v33, v24, v54
	v_fma_f32 v24, v24, v55, -v25
	s_waitcnt lgkmcnt(1)
	v_mul_f32_e32 v25, v27, v57
	v_mul_f32_e32 v27, v27, v56
	v_fmac_f32_e32 v25, v26, v56
	v_fma_f32 v26, v26, v57, -v27
	v_mul_f32_e32 v27, v17, v59
	v_mul_f32_e32 v17, v17, v58
	v_fmac_f32_e32 v27, v16, v58
	v_fma_f32 v16, v16, v59, -v17
	s_waitcnt lgkmcnt(0)
	v_mul_f32_e32 v17, v19, v61
	v_mul_f32_e32 v19, v19, v60
	;; [unrolled: 1-line block ×3, first 2 shown]
	v_fmac_f32_e32 v17, v18, v60
	v_fma_f32 v18, v18, v61, -v19
	v_mul_f32_e32 v19, v118, v63
	v_fmac_f32_e32 v7, v32, v50
	v_fma_f32 v30, v32, v51, -v30
	v_fmac_f32_e32 v31, v34, v52
	v_mul_f32_e32 v32, v35, v52
	v_fmac_f32_e32 v19, v117, v62
	v_sub_f32_e32 v5, v12, v5
	v_sub_f32_e32 v26, v22, v26
	v_fma_f32 v32, v34, v53, -v32
	v_mul_f32_e32 v34, v118, v62
	v_sub_f32_e32 v6, v13, v6
	v_sub_f32_e32 v25, v21, v25
	v_fma_f32 v22, v22, 2.0, -v26
	v_sub_f32_e32 v31, v15, v31
	v_sub_f32_e32 v18, v10, v18
	;; [unrolled: 1-line block ×6, first 2 shown]
	v_add_f32_e32 v26, v5, v26
	v_fma_f32 v34, v117, v63, -v34
	v_fma_f32 v12, v12, 2.0, -v5
	v_fma_f32 v21, v21, 2.0, -v25
	v_sub_f32_e32 v32, v28, v32
	v_sub_f32_e32 v17, v9, v17
	v_fma_f32 v10, v10, 2.0, -v18
	v_fma_f32 v35, v101, 2.0, -v7
	v_fma_f32 v23, v23, 2.0, -v27
	v_fma_f32 v29, v29, 2.0, -v33
	v_fma_f32 v11, v11, 2.0, -v19
	v_sub_f32_e32 v25, v6, v25
	v_fma_f32 v5, v5, 2.0, -v26
	v_add_f32_e32 v18, v31, v18
	v_mov_b32_e32 v40, v26
	v_fma_f32 v15, v15, 2.0, -v31
	v_fma_f32 v9, v9, 2.0, -v17
	v_sub_f32_e32 v30, v14, v30
	v_sub_f32_e32 v16, v8, v16
	v_sub_f32_e32 v24, v20, v24
	v_sub_f32_e32 v34, v4, v34
	v_sub_f32_e32 v17, v32, v17
	v_fma_f32 v31, v31, 2.0, -v18
	v_sub_f32_e32 v23, v35, v23
	v_sub_f32_e32 v11, v29, v11
	v_mov_b32_e32 v37, v5
	v_fmac_f32_e32 v40, 0x3f3504f3, v18
	v_mov_b32_e32 v41, v25
	v_fma_f32 v13, v13, 2.0, -v6
	v_fma_f32 v28, v28, 2.0, -v32
	v_fma_f32 v14, v14, 2.0, -v30
	v_fma_f32 v8, v8, 2.0, -v16
	v_fma_f32 v20, v20, 2.0, -v24
	v_fma_f32 v4, v4, 2.0, -v34
	v_sub_f32_e32 v21, v12, v21
	v_fma_f32 v6, v6, 2.0, -v25
	v_sub_f32_e32 v9, v15, v9
	v_fma_f32 v32, v32, 2.0, -v17
	v_fma_f32 v35, v35, 2.0, -v23
	v_sub_f32_e32 v27, v30, v27
	v_fma_f32 v29, v29, 2.0, -v11
	v_fmac_f32_e32 v37, 0xbf3504f3, v31
	v_fmac_f32_e32 v41, 0x3f3504f3, v17
	;; [unrolled: 1-line block ×3, first 2 shown]
	v_sub_f32_e32 v22, v13, v22
	v_fma_f32 v12, v12, 2.0, -v21
	v_sub_f32_e32 v10, v28, v10
	v_fma_f32 v15, v15, 2.0, -v9
	v_sub_f32_e32 v8, v14, v8
	v_add_f32_e32 v16, v7, v16
	v_fma_f32 v30, v30, 2.0, -v27
	v_sub_f32_e32 v4, v20, v4
	v_sub_f32_e32 v19, v24, v19
	v_mov_b32_e32 v38, v6
	v_fmac_f32_e32 v37, 0x3f3504f3, v32
	v_fmac_f32_e32 v41, 0xbf3504f3, v18
	v_fma_f32 v18, v26, 2.0, -v40
	v_sub_f32_e32 v26, v35, v29
	v_fma_f32 v13, v13, 2.0, -v22
	v_fma_f32 v28, v28, 2.0, -v10
	v_fma_f32 v14, v14, 2.0, -v8
	v_fma_f32 v7, v7, 2.0, -v16
	v_fma_f32 v20, v20, 2.0, -v4
	v_add_f32_e32 v34, v33, v34
	v_fma_f32 v24, v24, 2.0, -v19
	v_sub_f32_e32 v36, v12, v15
	v_fmac_f32_e32 v38, 0xbf3504f3, v32
	v_fma_f32 v15, v5, 2.0, -v37
	v_fma_f32 v5, v35, 2.0, -v26
	v_mov_b32_e32 v35, v30
	v_fma_f32 v33, v33, 2.0, -v34
	v_sub_f32_e32 v28, v13, v28
	v_fmac_f32_e32 v38, 0xbf3504f3, v31
	v_sub_f32_e32 v20, v14, v20
	v_mov_b32_e32 v29, v7
	v_fmac_f32_e32 v35, 0xbf3504f3, v24
	v_fma_f32 v12, v12, 2.0, -v36
	v_fma_f32 v13, v13, 2.0, -v28
	;; [unrolled: 1-line block ×3, first 2 shown]
	v_sub_f32_e32 v39, v22, v9
	v_fma_f32 v6, v14, 2.0, -v20
	v_fmac_f32_e32 v29, 0xbf3504f3, v33
	v_fmac_f32_e32 v35, 0xbf3504f3, v33
	v_add_f32_e32 v32, v21, v10
	v_fma_f32 v22, v22, 2.0, -v39
	v_fmac_f32_e32 v29, 0x3f3504f3, v24
	v_fma_f32 v14, v30, 2.0, -v35
	v_add_f32_e32 v30, v23, v4
	v_sub_f32_e32 v33, v8, v11
	v_mov_b32_e32 v43, v27
	v_sub_f32_e32 v4, v12, v5
	v_sub_f32_e32 v5, v13, v6
	v_fma_f32 v21, v21, 2.0, -v32
	v_fma_f32 v10, v7, 2.0, -v29
	;; [unrolled: 1-line block ×4, first 2 shown]
	v_mov_b32_e32 v42, v16
	v_fmac_f32_e32 v43, 0x3f3504f3, v19
	v_fma_f32 v7, v13, 2.0, -v5
	v_mov_b32_e32 v13, v22
	v_fma_f32 v25, v25, 2.0, -v41
	v_fmac_f32_e32 v42, 0x3f3504f3, v34
	v_fmac_f32_e32 v43, 0xbf3504f3, v34
	v_fma_f32 v6, v12, 2.0, -v4
	v_mov_b32_e32 v12, v21
	v_fmac_f32_e32 v13, 0xbf3504f3, v23
	v_fmac_f32_e32 v42, 0x3f3504f3, v19
	v_fma_f32 v24, v27, 2.0, -v43
	v_fmac_f32_e32 v12, 0xbf3504f3, v17
	v_fmac_f32_e32 v13, 0xbf3504f3, v17
	v_mov_b32_e32 v17, v25
	v_fma_f32 v19, v16, 2.0, -v42
	v_mov_b32_e32 v8, v15
	v_fmac_f32_e32 v17, 0xbec3ef15, v24
	v_fmac_f32_e32 v8, 0xbf6c835e, v10
	v_mov_b32_e32 v9, v31
	v_fmac_f32_e32 v12, 0x3f3504f3, v23
	v_mov_b32_e32 v16, v18
	v_fmac_f32_e32 v17, 0xbf6c835e, v19
	v_fmac_f32_e32 v9, 0xbf6c835e, v14
	;; [unrolled: 1-line block ×3, first 2 shown]
	v_fma_f32 v14, v21, 2.0, -v12
	v_fmac_f32_e32 v16, 0xbec3ef15, v19
	v_fma_f32 v19, v25, 2.0, -v17
	v_sub_f32_e32 v21, v28, v26
	v_mov_b32_e32 v25, v38
	v_fmac_f32_e32 v16, 0x3f6c835e, v24
	v_fma_f32 v23, v28, 2.0, -v21
	v_mov_b32_e32 v24, v37
	v_fmac_f32_e32 v25, 0x3ec3ef15, v35
	v_mov_b32_e32 v28, v32
	v_fmac_f32_e32 v24, 0x3ec3ef15, v29
	v_fmac_f32_e32 v25, 0xbf6c835e, v29
	;; [unrolled: 1-line block ×3, first 2 shown]
	v_mov_b32_e32 v29, v39
	v_fmac_f32_e32 v29, 0x3f3504f3, v33
	v_fmac_f32_e32 v28, 0x3f3504f3, v33
	;; [unrolled: 1-line block ×3, first 2 shown]
	v_fma_f32 v30, v32, 2.0, -v28
	v_mov_b32_e32 v32, v40
	v_mov_b32_e32 v33, v41
	v_fmac_f32_e32 v9, 0xbec3ef15, v10
	v_fmac_f32_e32 v32, 0x3f6c835e, v42
	;; [unrolled: 1-line block ×3, first 2 shown]
	v_fma_f32 v10, v15, 2.0, -v8
	v_fma_f32 v11, v31, 2.0, -v9
	v_add_f32_e32 v20, v36, v20
	v_fmac_f32_e32 v24, 0x3f6c835e, v35
	v_fmac_f32_e32 v32, 0x3ec3ef15, v43
	;; [unrolled: 1-line block ×3, first 2 shown]
	v_fma_f32 v15, v22, 2.0, -v13
	v_fma_f32 v18, v18, 2.0, -v16
	;; [unrolled: 1-line block ×8, first 2 shown]
	ds_write2_b64 v120, v[6:7], v[10:11] offset1:80
	ds_write2_b64 v120, v[14:15], v[18:19] offset0:160 offset1:240
	ds_write2_b64 v66, v[22:23], v[26:27] offset0:64 offset1:144
	;; [unrolled: 1-line block ×7, first 2 shown]
	s_waitcnt lgkmcnt(0)
	s_barrier
	ds_read2_b64 v[4:7], v120 offset1:80
	v_mad_u64_u32 v[64:65], s[0:1], s10, v80, 0
	s_mov_b32 s0, 0x9999999a
	s_mov_b32 s1, 0x3f499999
	s_waitcnt lgkmcnt(0)
	v_mul_f32_e32 v9, v100, v5
	v_fmac_f32_e32 v9, v99, v4
	v_cvt_f64_f32_e32 v[9:10], v9
	v_mul_f32_e32 v4, v100, v4
	v_fma_f32 v4, v99, v5, -v4
	v_cvt_f64_f32_e32 v[4:5], v4
	v_mul_f64 v[9:10], v[9:10], s[0:1]
	v_mad_u64_u32 v[11:12], s[2:3], s8, v121, 0
	v_mov_b32_e32 v8, v65
	v_mul_f64 v[4:5], v[4:5], s[0:1]
	v_mad_u64_u32 v[13:14], s[2:3], s11, v80, v[8:9]
	v_mov_b32_e32 v8, v12
	v_mad_u64_u32 v[14:15], s[2:3], s9, v121, v[8:9]
	v_mov_b32_e32 v65, v13
	v_mul_f32_e32 v13, v98, v7
	v_fmac_f32_e32 v13, v97, v6
	v_mov_b32_e32 v12, v14
	v_cvt_f64_f32_e32 v[13:14], v13
	v_cvt_f32_f64_e32 v8, v[9:10]
	v_cvt_f32_f64_e32 v9, v[4:5]
	v_lshlrev_b64 v[4:5], 3, v[64:65]
	v_mov_b32_e32 v10, s7
	v_mul_f32_e32 v6, v98, v6
	v_add_co_u32_e32 v17, vcc, s6, v4
	v_fma_f32 v6, v97, v7, -v6
	v_addc_co_u32_e32 v18, vcc, v10, v5, vcc
	v_mul_f64 v[4:5], v[13:14], s[0:1]
	v_cvt_f64_f32_e32 v[6:7], v6
	v_lshlrev_b64 v[10:11], 3, v[11:12]
	s_mul_i32 s2, s9, 0x280
	v_add_co_u32_e32 v10, vcc, v17, v10
	v_mul_f64 v[12:13], v[6:7], s[0:1]
	v_addc_co_u32_e32 v11, vcc, v18, v11, vcc
	global_store_dwordx2 v[10:11], v[8:9], off
	v_cvt_f32_f64_e32 v8, v[4:5]
	ds_read2_b64 v[4:7], v120 offset0:160 offset1:240
	s_mul_hi_u32 s3, s8, 0x280
	s_add_i32 s2, s3, s2
	v_cvt_f32_f64_e32 v9, v[12:13]
	s_mul_i32 s3, s8, 0x280
	s_waitcnt lgkmcnt(0)
	v_mul_f32_e32 v12, v96, v5
	v_fmac_f32_e32 v12, v95, v4
	v_mul_f32_e32 v4, v96, v4
	v_fma_f32 v4, v95, v5, -v4
	v_cvt_f64_f32_e32 v[12:13], v12
	v_cvt_f64_f32_e32 v[4:5], v4
	v_mov_b32_e32 v14, s2
	v_add_co_u32_e32 v10, vcc, s3, v10
	v_mul_f64 v[12:13], v[12:13], s[0:1]
	v_mul_f64 v[4:5], v[4:5], s[0:1]
	v_addc_co_u32_e32 v11, vcc, v11, v14, vcc
	global_store_dwordx2 v[10:11], v[8:9], off
	v_mul_f32_e32 v8, v92, v7
	v_fmac_f32_e32 v8, v91, v6
	v_cvt_f64_f32_e32 v[8:9], v8
	v_cvt_f32_f64_e32 v12, v[12:13]
	v_cvt_f32_f64_e32 v13, v[4:5]
	v_mul_f32_e32 v4, v92, v6
	v_mul_f64 v[8:9], v[8:9], s[0:1]
	v_fma_f32 v4, v91, v7, -v4
	v_cvt_f64_f32_e32 v[14:15], v4
	ds_read2_b64 v[4:7], v66 offset0:64 offset1:144
	v_mov_b32_e32 v16, s2
	v_add_co_u32_e32 v10, vcc, s3, v10
	v_addc_co_u32_e32 v11, vcc, v11, v16, vcc
	global_store_dwordx2 v[10:11], v[12:13], off
	v_mul_f64 v[12:13], v[14:15], s[0:1]
	v_cvt_f32_f64_e32 v8, v[8:9]
	s_waitcnt lgkmcnt(0)
	v_mul_f32_e32 v9, v94, v5
	v_fmac_f32_e32 v9, v93, v4
	v_mul_f32_e32 v4, v94, v4
	v_fma_f32 v4, v93, v5, -v4
	v_cvt_f64_f32_e32 v[14:15], v9
	v_cvt_f64_f32_e32 v[4:5], v4
	v_cvt_f32_f64_e32 v9, v[12:13]
	v_add_co_u32_e32 v10, vcc, s3, v10
	v_mul_f64 v[12:13], v[14:15], s[0:1]
	v_mul_f64 v[4:5], v[4:5], s[0:1]
	v_addc_co_u32_e32 v11, vcc, v11, v16, vcc
	global_store_dwordx2 v[10:11], v[8:9], off
	v_mul_f32_e32 v8, v90, v7
	v_fmac_f32_e32 v8, v89, v6
	v_cvt_f64_f32_e32 v[8:9], v8
	v_cvt_f32_f64_e32 v12, v[12:13]
	v_cvt_f32_f64_e32 v13, v[4:5]
	v_mul_f32_e32 v4, v90, v6
	v_fma_f32 v4, v89, v7, -v4
	v_mul_f64 v[8:9], v[8:9], s[0:1]
	v_cvt_f64_f32_e32 v[14:15], v4
	v_add_co_u32_e32 v10, vcc, s3, v10
	ds_read2_b64 v[4:7], v67 offset0:96 offset1:176
	v_addc_co_u32_e32 v11, vcc, v11, v16, vcc
	global_store_dwordx2 v[10:11], v[12:13], off
	v_mul_f64 v[12:13], v[14:15], s[0:1]
	v_cvt_f32_f64_e32 v8, v[8:9]
	s_waitcnt lgkmcnt(0)
	v_mul_f32_e32 v9, v82, v5
	v_fmac_f32_e32 v9, v81, v4
	v_mul_f32_e32 v4, v82, v4
	v_fma_f32 v4, v81, v5, -v4
	v_cvt_f64_f32_e32 v[14:15], v9
	v_cvt_f64_f32_e32 v[4:5], v4
	v_cvt_f32_f64_e32 v9, v[12:13]
	v_add_co_u32_e32 v10, vcc, s3, v10
	v_mul_f64 v[12:13], v[14:15], s[0:1]
	v_mul_f64 v[4:5], v[4:5], s[0:1]
	v_addc_co_u32_e32 v11, vcc, v11, v16, vcc
	global_store_dwordx2 v[10:11], v[8:9], off
	v_mul_f32_e32 v8, v86, v7
	v_fmac_f32_e32 v8, v85, v6
	v_cvt_f64_f32_e32 v[8:9], v8
	v_cvt_f32_f64_e32 v12, v[12:13]
	v_cvt_f32_f64_e32 v13, v[4:5]
	v_mul_f32_e32 v4, v86, v6
	v_mul_f64 v[8:9], v[8:9], s[0:1]
	v_fma_f32 v4, v85, v7, -v4
	v_cvt_f64_f32_e32 v[14:15], v4
	ds_read2_b64 v[3:6], v3 offset0:128 offset1:208
	v_add_co_u32_e32 v10, vcc, s3, v10
	v_addc_co_u32_e32 v11, vcc, v11, v16, vcc
	v_cvt_f32_f64_e32 v7, v[8:9]
	s_waitcnt lgkmcnt(0)
	v_mul_f32_e32 v8, v84, v4
	v_fmac_f32_e32 v8, v83, v3
	v_mul_f32_e32 v3, v84, v3
	v_fma_f32 v3, v83, v4, -v3
	global_store_dwordx2 v[10:11], v[12:13], off
	v_mul_f64 v[12:13], v[14:15], s[0:1]
	v_cvt_f64_f32_e32 v[3:4], v3
	v_cvt_f64_f32_e32 v[14:15], v8
	v_add_co_u32_e32 v9, vcc, s3, v10
	v_mul_f64 v[3:4], v[3:4], s[0:1]
	v_addc_co_u32_e32 v10, vcc, v11, v16, vcc
	v_cvt_f32_f64_e32 v8, v[12:13]
	v_mul_f64 v[12:13], v[14:15], s[0:1]
	v_mad_u64_u32 v[14:15], s[4:5], s8, v119, 0
	global_store_dwordx2 v[9:10], v[7:8], off
	v_cvt_f32_f64_e32 v8, v[3:4]
	v_mov_b32_e32 v3, v15
	v_mad_u64_u32 v[3:4], s[4:5], s9, v119, v[3:4]
	v_mul_f32_e32 v4, v88, v6
	v_fmac_f32_e32 v4, v87, v5
	v_cvt_f32_f64_e32 v7, v[12:13]
	v_cvt_f64_f32_e32 v[11:12], v4
	v_mul_f32_e32 v4, v88, v5
	v_fma_f32 v4, v87, v6, -v4
	v_cvt_f64_f32_e32 v[4:5], v4
	v_mov_b32_e32 v15, v3
	v_mul_f64 v[11:12], v[11:12], s[0:1]
	v_lshlrev_b64 v[13:14], 3, v[14:15]
	v_mul_f64 v[15:16], v[4:5], s[0:1]
	ds_read2_b64 v[2:5], v2 offset0:32 offset1:112
	v_add_co_u32_e32 v13, vcc, v17, v13
	v_addc_co_u32_e32 v14, vcc, v18, v14, vcc
	global_store_dwordx2 v[13:14], v[7:8], off
	s_waitcnt lgkmcnt(0)
	v_mul_f32_e32 v8, v79, v3
	v_fmac_f32_e32 v8, v78, v2
	v_mul_f32_e32 v2, v79, v2
	v_cvt_f32_f64_e32 v6, v[11:12]
	v_cvt_f64_f32_e32 v[11:12], v8
	v_mov_b32_e32 v8, 0x500
	v_fma_f32 v2, v78, v3, -v2
	v_mad_u64_u32 v[8:9], s[4:5], s8, v8, v[9:10]
	v_cvt_f64_f32_e32 v[2:3], v2
	v_cvt_f32_f64_e32 v7, v[15:16]
	s_mul_i32 s4, s9, 0x500
	v_mul_f64 v[10:11], v[11:12], s[0:1]
	v_add_u32_e32 v9, s4, v9
	v_mul_f64 v[2:3], v[2:3], s[0:1]
	global_store_dwordx2 v[8:9], v[6:7], off
	v_mul_f32_e32 v7, v77, v5
	v_fmac_f32_e32 v7, v76, v4
	v_mul_f32_e32 v4, v77, v4
	v_fma_f32 v4, v76, v5, -v4
	v_cvt_f64_f32_e32 v[4:5], v4
	v_cvt_f32_f64_e32 v6, v[10:11]
	v_cvt_f64_f32_e32 v[10:11], v7
	v_cvt_f32_f64_e32 v7, v[2:3]
	v_mul_f64 v[12:13], v[4:5], s[0:1]
	ds_read2_b64 v[1:4], v1 offset0:64 offset1:144
	v_mov_b32_e32 v14, s2
	v_add_co_u32_e32 v8, vcc, s3, v8
	v_addc_co_u32_e32 v9, vcc, v9, v14, vcc
	s_waitcnt lgkmcnt(0)
	v_mul_f32_e32 v5, v75, v2
	v_fmac_f32_e32 v5, v74, v1
	global_store_dwordx2 v[8:9], v[6:7], off
	v_cvt_f64_f32_e32 v[5:6], v5
	v_mul_f64 v[10:11], v[10:11], s[0:1]
	v_mul_f32_e32 v1, v75, v1
	v_fma_f32 v1, v74, v2, -v1
	v_mul_f64 v[5:6], v[5:6], s[0:1]
	v_cvt_f64_f32_e32 v[1:2], v1
	v_add_co_u32_e32 v7, vcc, s3, v8
	v_mul_f64 v[1:2], v[1:2], s[0:1]
	v_cvt_f32_f64_e32 v10, v[10:11]
	v_cvt_f32_f64_e32 v11, v[12:13]
	;; [unrolled: 1-line block ×3, first 2 shown]
	v_mul_f32_e32 v6, v73, v4
	v_mov_b32_e32 v12, s2
	v_fmac_f32_e32 v6, v72, v3
	v_mul_f32_e32 v3, v73, v3
	v_addc_co_u32_e32 v8, vcc, v9, v12, vcc
	v_fma_f32 v3, v72, v4, -v3
	global_store_dwordx2 v[7:8], v[10:11], off
	v_cvt_f64_f32_e32 v[9:10], v6
	v_cvt_f64_f32_e32 v[3:4], v3
	v_cvt_f32_f64_e32 v6, v[1:2]
	v_mov_b32_e32 v1, s2
	v_add_co_u32_e32 v7, vcc, s3, v7
	v_mul_f64 v[9:10], v[9:10], s[0:1]
	v_mul_f64 v[11:12], v[3:4], s[0:1]
	v_addc_co_u32_e32 v8, vcc, v8, v1, vcc
	ds_read2_b64 v[0:3], v0 offset0:96 offset1:176
	global_store_dwordx2 v[7:8], v[5:6], off
	v_cvt_f32_f64_e32 v4, v[9:10]
	s_waitcnt lgkmcnt(0)
	v_mul_f32_e32 v6, v71, v1
	v_fmac_f32_e32 v6, v70, v0
	v_mul_f32_e32 v0, v71, v0
	v_fma_f32 v0, v70, v1, -v0
	v_cvt_f32_f64_e32 v5, v[11:12]
	v_cvt_f64_f32_e32 v[9:10], v6
	v_cvt_f64_f32_e32 v[0:1], v0
	v_mov_b32_e32 v11, s2
	v_add_co_u32_e32 v6, vcc, s3, v7
	v_addc_co_u32_e32 v7, vcc, v8, v11, vcc
	global_store_dwordx2 v[6:7], v[4:5], off
	v_mul_f64 v[4:5], v[9:10], s[0:1]
	v_mul_f64 v[0:1], v[0:1], s[0:1]
	v_mul_f32_e32 v8, v69, v3
	v_fmac_f32_e32 v8, v68, v2
	v_mul_f32_e32 v2, v69, v2
	v_fma_f32 v2, v68, v3, -v2
	v_cvt_f64_f32_e32 v[8:9], v8
	v_cvt_f64_f32_e32 v[2:3], v2
	v_cvt_f32_f64_e32 v4, v[4:5]
	v_cvt_f32_f64_e32 v5, v[0:1]
	v_mul_f64 v[0:1], v[8:9], s[0:1]
	v_mul_f64 v[2:3], v[2:3], s[0:1]
	v_mov_b32_e32 v8, s2
	v_add_co_u32_e32 v6, vcc, s3, v6
	v_addc_co_u32_e32 v7, vcc, v7, v8, vcc
	global_store_dwordx2 v[6:7], v[4:5], off
	v_cvt_f32_f64_e32 v0, v[0:1]
	v_cvt_f32_f64_e32 v1, v[2:3]
	v_mov_b32_e32 v3, s2
	v_add_co_u32_e32 v2, vcc, s3, v6
	v_addc_co_u32_e32 v3, vcc, v7, v3, vcc
	global_store_dwordx2 v[2:3], v[0:1], off
.LBB0_10:
	s_endpgm
	.section	.rodata,"a",@progbits
	.p2align	6, 0x0
	.amdhsa_kernel bluestein_single_fwd_len1280_dim1_sp_op_CI_CI
		.amdhsa_group_segment_fixed_size 10240
		.amdhsa_private_segment_fixed_size 0
		.amdhsa_kernarg_size 104
		.amdhsa_user_sgpr_count 6
		.amdhsa_user_sgpr_private_segment_buffer 1
		.amdhsa_user_sgpr_dispatch_ptr 0
		.amdhsa_user_sgpr_queue_ptr 0
		.amdhsa_user_sgpr_kernarg_segment_ptr 1
		.amdhsa_user_sgpr_dispatch_id 0
		.amdhsa_user_sgpr_flat_scratch_init 0
		.amdhsa_user_sgpr_private_segment_size 0
		.amdhsa_uses_dynamic_stack 0
		.amdhsa_system_sgpr_private_segment_wavefront_offset 0
		.amdhsa_system_sgpr_workgroup_id_x 1
		.amdhsa_system_sgpr_workgroup_id_y 0
		.amdhsa_system_sgpr_workgroup_id_z 0
		.amdhsa_system_sgpr_workgroup_info 0
		.amdhsa_system_vgpr_workitem_id 0
		.amdhsa_next_free_vgpr 161
		.amdhsa_next_free_sgpr 20
		.amdhsa_reserve_vcc 1
		.amdhsa_reserve_flat_scratch 0
		.amdhsa_float_round_mode_32 0
		.amdhsa_float_round_mode_16_64 0
		.amdhsa_float_denorm_mode_32 3
		.amdhsa_float_denorm_mode_16_64 3
		.amdhsa_dx10_clamp 1
		.amdhsa_ieee_mode 1
		.amdhsa_fp16_overflow 0
		.amdhsa_exception_fp_ieee_invalid_op 0
		.amdhsa_exception_fp_denorm_src 0
		.amdhsa_exception_fp_ieee_div_zero 0
		.amdhsa_exception_fp_ieee_overflow 0
		.amdhsa_exception_fp_ieee_underflow 0
		.amdhsa_exception_fp_ieee_inexact 0
		.amdhsa_exception_int_div_zero 0
	.end_amdhsa_kernel
	.text
.Lfunc_end0:
	.size	bluestein_single_fwd_len1280_dim1_sp_op_CI_CI, .Lfunc_end0-bluestein_single_fwd_len1280_dim1_sp_op_CI_CI
                                        ; -- End function
	.section	.AMDGPU.csdata,"",@progbits
; Kernel info:
; codeLenInByte = 13280
; NumSgprs: 24
; NumVgprs: 161
; ScratchSize: 0
; MemoryBound: 0
; FloatMode: 240
; IeeeMode: 1
; LDSByteSize: 10240 bytes/workgroup (compile time only)
; SGPRBlocks: 2
; VGPRBlocks: 40
; NumSGPRsForWavesPerEU: 24
; NumVGPRsForWavesPerEU: 161
; Occupancy: 1
; WaveLimiterHint : 1
; COMPUTE_PGM_RSRC2:SCRATCH_EN: 0
; COMPUTE_PGM_RSRC2:USER_SGPR: 6
; COMPUTE_PGM_RSRC2:TRAP_HANDLER: 0
; COMPUTE_PGM_RSRC2:TGID_X_EN: 1
; COMPUTE_PGM_RSRC2:TGID_Y_EN: 0
; COMPUTE_PGM_RSRC2:TGID_Z_EN: 0
; COMPUTE_PGM_RSRC2:TIDIG_COMP_CNT: 0
	.type	__hip_cuid_13c16598a15a5ff1,@object ; @__hip_cuid_13c16598a15a5ff1
	.section	.bss,"aw",@nobits
	.globl	__hip_cuid_13c16598a15a5ff1
__hip_cuid_13c16598a15a5ff1:
	.byte	0                               ; 0x0
	.size	__hip_cuid_13c16598a15a5ff1, 1

	.ident	"AMD clang version 19.0.0git (https://github.com/RadeonOpenCompute/llvm-project roc-6.4.0 25133 c7fe45cf4b819c5991fe208aaa96edf142730f1d)"
	.section	".note.GNU-stack","",@progbits
	.addrsig
	.addrsig_sym __hip_cuid_13c16598a15a5ff1
	.amdgpu_metadata
---
amdhsa.kernels:
  - .args:
      - .actual_access:  read_only
        .address_space:  global
        .offset:         0
        .size:           8
        .value_kind:     global_buffer
      - .actual_access:  read_only
        .address_space:  global
        .offset:         8
        .size:           8
        .value_kind:     global_buffer
      - .actual_access:  read_only
        .address_space:  global
        .offset:         16
        .size:           8
        .value_kind:     global_buffer
      - .actual_access:  read_only
        .address_space:  global
        .offset:         24
        .size:           8
        .value_kind:     global_buffer
      - .actual_access:  read_only
        .address_space:  global
        .offset:         32
        .size:           8
        .value_kind:     global_buffer
      - .offset:         40
        .size:           8
        .value_kind:     by_value
      - .address_space:  global
        .offset:         48
        .size:           8
        .value_kind:     global_buffer
      - .address_space:  global
        .offset:         56
        .size:           8
        .value_kind:     global_buffer
      - .address_space:  global
        .offset:         64
        .size:           8
        .value_kind:     global_buffer
      - .address_space:  global
        .offset:         72
        .size:           8
        .value_kind:     global_buffer
      - .offset:         80
        .size:           4
        .value_kind:     by_value
      - .address_space:  global
        .offset:         88
        .size:           8
        .value_kind:     global_buffer
      - .address_space:  global
        .offset:         96
        .size:           8
        .value_kind:     global_buffer
    .group_segment_fixed_size: 10240
    .kernarg_segment_align: 8
    .kernarg_segment_size: 104
    .language:       OpenCL C
    .language_version:
      - 2
      - 0
    .max_flat_workgroup_size: 80
    .name:           bluestein_single_fwd_len1280_dim1_sp_op_CI_CI
    .private_segment_fixed_size: 0
    .sgpr_count:     24
    .sgpr_spill_count: 0
    .symbol:         bluestein_single_fwd_len1280_dim1_sp_op_CI_CI.kd
    .uniform_work_group_size: 1
    .uses_dynamic_stack: false
    .vgpr_count:     161
    .vgpr_spill_count: 0
    .wavefront_size: 64
amdhsa.target:   amdgcn-amd-amdhsa--gfx906
amdhsa.version:
  - 1
  - 2
...

	.end_amdgpu_metadata
